;; amdgpu-corpus repo=ROCm/aiter kind=harvested arch=n/a opt=n/a

/root/src/amdgpu-assembly/repos/ROCm__aiter/hsa/gfx950/fmoe_2stages/fmoe_stage1_bf16_pertokenFp8_blockscale_g1u1_48x256_pf3.co:	file format elf64-amdgpu

Disassembly of section .text:

0000000000002a00 <_ZN5aiter55fmoe_stage1_bf16_pertokenFp8_blockscale_g1u1_48x256_pf3E>:
	s_and_b32 s1, s1, 0xffff                                   // 000000002A00: 8601FF01 0000FFFF
	s_load_dwordx2 s[8:9], s[0:1], 0x0                         // 000000002A08: C0060200 00000000
	s_load_dwordx2 s[20:21], s[0:1], 0x10                      // 000000002A10: C0060500 00000010
	s_load_dwordx2 s[24:25], s[0:1], 0x20                      // 000000002A18: C0060600 00000020
	s_load_dwordx2 s[48:49], s[0:1], 0x30                      // 000000002A20: C0060C00 00000030
	s_load_dwordx2 s[28:29], s[0:1], 0x40                      // 000000002A28: C0060700 00000040
	s_load_dwordx2 s[32:33], s[0:1], 0x50                      // 000000002A30: C0060800 00000050
	s_load_dwordx2 s[36:37], s[0:1], 0x60                      // 000000002A38: C0060900 00000060
	s_load_dwordx2 s[12:13], s[0:1], 0x70                      // 000000002A40: C0060300 00000070
	s_load_dwordx2 s[44:45], s[0:1], 0x80                      // 000000002A48: C0060B00 00000080
	s_mov_b32 s89, 0                                           // 000000002A50: BED90080
	s_load_dword s64, s[0:1], 0x90                             // 000000002A54: C0021000 00000090
	s_load_dword s65, s[0:1], 0xa0                             // 000000002A5C: C0021040 000000A0
	s_load_dword s66, s[0:1], 0xb0                             // 000000002A64: C0021080 000000B0
	s_load_dword s67, s[0:1], 0xc0                             // 000000002A6C: C00210C0 000000C0
	s_load_dword s68, s[0:1], 0xd0                             // 000000002A74: C0021100 000000D0
	s_load_dword s69, s[0:1], 0xe0                             // 000000002A7C: C0021140 000000E0
	s_load_dword s71, s[0:1], 0xf0                             // 000000002A84: C00211C0 000000F0
	s_load_dword s72, s[0:1], 0x100                            // 000000002A8C: C0021200 00000100
	s_load_dword s74, s[0:1], 0x110                            // 000000002A94: C0021280 00000110
	s_load_dword s76, s[0:1], 0x120                            // 000000002A9C: C0021300 00000120
	s_load_dword s56, s[0:1], 0x130                            // 000000002AA4: C0020E00 00000130
	s_load_dword s88, s[0:1], 0x140                            // 000000002AAC: C0021600 00000140
	s_load_dword s89, s[0:1], 0x150                            // 000000002AB4: C0021640 00000150
	v_lshrrev_b32_e32 v1, 10, v0                               // 000000002ABC: 2002008A
	v_lshrrev_b32_e32 v2, 10, v1                               // 000000002AC0: 2004028A
	v_and_b32_e32 v2, 0x3ff, v2                                // 000000002AC4: 260404FF 000003FF
	v_and_b32_e32 v1, 0x3ff, v1                                // 000000002ACC: 260202FF 000003FF
	v_and_b32_e32 v0, 0x3ff, v0                                // 000000002AD4: 260000FF 000003FF
	v_lshrrev_b32_e32 v3, 6, v0                                // 000000002ADC: 20060086
	v_and_b32_e32 v0, 63, v0                                   // 000000002AE0: 260000BF
	s_mov_b32 s2, s2                                           // 000000002AE4: BE820002
	s_mov_b32 s3, s3                                           // 000000002AE8: BE830003
	s_mov_b32 s4, s4                                           // 000000002AEC: BE840004
	v_readfirstlane_b32 s7, v3                                 // 000000002AF0: 7E0E0503
	s_waitcnt lgkmcnt(0)                                       // 000000002AF4: BF8CC07F
	s_and_b32 s49, s49, 0xffff                                 // 000000002AF8: 8631FF31 0000FFFF
	s_load_dword s48, s[48:49], 0x0                            // 000000002B00: C0020C18 00000000
	s_and_b32 s45, s45, 0xffff                                 // 000000002B08: 862DFF2D 0000FFFF
	s_and_b32 s9, s9, 0xffff                                   // 000000002B10: 8609FF09 0000FFFF
	s_mul_i32 s60, s66, s68                                    // 000000002B18: 923C4442
	s_mul_i32 s61, s66, 4                                      // 000000002B1C: 923D8442
	s_mov_b32 s22, s60                                         // 000000002B20: BE96003C
	s_mov_b32 s26, -16                                         // 000000002B24: BE9A00D0
	s_mov_b32 s30, s61                                         // 000000002B28: BE9E003D
	s_mov_b32 s14, 0xc0                                        // 000000002B2C: BE8E00FF 000000C0
	s_mov_b32 s38, -16                                         // 000000002B34: BEA600D0
	s_mov_b32 s10, -16                                         // 000000002B38: BE8A00D0
	s_lshr_b32 s60, s64, 7                                     // 000000002B3C: 8F3C8740
	s_mul_i32 s61, s60, 4                                      // 000000002B40: 923D843C
	s_lshr_b32 s60, s65, 7                                     // 000000002B44: 8F3C8741
	s_add_u32 s60, s60, 2                                      // 000000002B48: 803C823C
	s_mul_i32 s60, s60, s61                                    // 000000002B4C: 923C3D3C
	s_mov_b32 s34, s60                                         // 000000002B50: BEA2003C
	s_mov_b32 s23, 0x20000                                     // 000000002B54: BE9700FF 00020000
	s_mov_b32 s27, 0x20000                                     // 000000002B5C: BE9B00FF 00020000
	s_mov_b32 s31, 0x20000                                     // 000000002B64: BE9F00FF 00020000
	s_mov_b32 s35, 0x20000                                     // 000000002B6C: BEA300FF 00020000
	s_mov_b32 s15, 0x20000                                     // 000000002B74: BE8F00FF 00020000
	s_mov_b32 s39, 0x20000                                     // 000000002B7C: BEA700FF 00020000
	s_mov_b32 s11, 0x20000                                     // 000000002B84: BE8B00FF 00020000
	s_and_b32 s21, s21, 0xffff                                 // 000000002B8C: 8615FF15 0000FFFF
	s_and_b32 s25, s25, 0xffff                                 // 000000002B94: 8619FF19 0000FFFF
	s_and_b32 s29, s29, 0xffff                                 // 000000002B9C: 861DFF1D 0000FFFF
	s_and_b32 s33, s33, 0xffff                                 // 000000002BA4: 8621FF21 0000FFFF
	s_and_b32 s13, s13, 0xffff                                 // 000000002BAC: 860DFF0D 0000FFFF
	s_and_b32 s37, s37, 0xffff                                 // 000000002BB4: 8625FF25 0000FFFF
	s_or_b32 s21, s21, 0x40000                                 // 000000002BBC: 8715FF15 00040000
	s_or_b32 s25, s25, 0x40000                                 // 000000002BC4: 8719FF19 00040000
	s_or_b32 s29, s29, 0x40000                                 // 000000002BCC: 871DFF1D 00040000
	s_or_b32 s33, s33, 0x40000                                 // 000000002BD4: 8721FF21 00040000
	s_or_b32 s13, s13, 0x40000                                 // 000000002BDC: 870DFF0D 00040000
	s_or_b32 s37, s37, 0x40000                                 // 000000002BE4: 8725FF25 00040000
	v_accvgpr_write_b32 a143, 0                                // 000000002BEC: D3D9408F 18000080
	v_mov_b32_e32 v147, 0                                      // 000000002BF4: 7F260280
	s_waitcnt lgkmcnt(0)                                       // 000000002BF8: BF8CC07F
	s_mul_i32 s60, s3, 48                                      // 000000002BFC: 923CB003
	s_cmp_lt_i32 s60, s48                                      // 000000002C00: BF04303C
	s_cbranch_scc0 label_30DE                                  // 000000002C04: BF843059
	s_mov_b32 s80, 0                                           // 000000002C08: BED00080
	s_lshr_b32 s81, s64, s88                                   // 000000002C0C: 8F515840
	s_mul_i32 s60, s3, 4                                       // 000000002C10: 923C8403
	s_add_u32 s44, s60, s44                                    // 000000002C14: 802C2C3C
	s_addc_u32 s45, 0, s45                                     // 000000002C18: 822D2D80
	s_load_dword s5, s[44:45], 0x0                             // 000000002C1C: C0020156 00000000
	s_mul_i32 s60, s3, 48                                      // 000000002C24: 923CB003
	s_mul_i32 s60, 4, s60                                      // 000000002C28: 923C3C84
	s_add_u32 s12, s60, s12                                    // 000000002C2C: 800C0C3C
	s_addc_u32 s13, 0, s13                                     // 000000002C30: 820D0D80
	v_and_b32_e32 v4, 15, v0                                   // 000000002C34: 2608008F
	v_lshlrev_b32_e32 v4, 2, v4                                // 000000002C38: 24080882
	buffer_load_dword v30, v4, s[12:15], 0 offen               // 000000002C3C: E0501000 80031E04
	v_add_u32_e32 v4, 64, v4                                   // 000000002C44: 680808C0
	buffer_load_dword v31, v4, s[12:15], 0 offen               // 000000002C48: E0501000 80031F04
	v_add_u32_e32 v4, 64, v4                                   // 000000002C50: 680808C0
	buffer_load_dword v32, v4, s[12:15], 0 offen               // 000000002C54: E0501000 80032004
	v_add_u32_e32 v4, 64, v4                                   // 000000002C5C: 680808C0
	s_mul_i32 s60, 4, s7                                       // 000000002C60: 923C0784
	v_lshlrev_b32_e32 v4, 4, v0                                // 000000002C64: 24080084
	v_add_u32_e32 v4, s60, v4                                  // 000000002C68: 6808083C
	buffer_load_dword v3, v4, s[12:15], 0 offen                // 000000002C6C: E0501000 80030304
	v_mov_b32_e32 v52, 0                                       // 000000002C74: 7E680280
	v_mov_b32_e32 v100, 0                                      // 000000002C78: 7EC80280
	v_mov_b32_e32 v53, 0                                       // 000000002C7C: 7E6A0280
	v_mov_b32_e32 v101, 0                                      // 000000002C80: 7ECA0280
	v_mov_b32_e32 v54, 0                                       // 000000002C84: 7E6C0280
	v_mov_b32_e32 v102, 0                                      // 000000002C88: 7ECC0280
	v_mov_b32_e32 v55, 0                                       // 000000002C8C: 7E6E0280
	v_mov_b32_e32 v103, 0                                      // 000000002C90: 7ECE0280
	v_mov_b32_e32 v56, 0                                       // 000000002C94: 7E700280
	v_mov_b32_e32 v104, 0                                      // 000000002C98: 7ED00280
	v_mov_b32_e32 v57, 0                                       // 000000002C9C: 7E720280
	v_mov_b32_e32 v105, 0                                      // 000000002CA0: 7ED20280
	v_mov_b32_e32 v58, 0                                       // 000000002CA4: 7E740280
	v_mov_b32_e32 v106, 0                                      // 000000002CA8: 7ED40280
	v_mov_b32_e32 v59, 0                                       // 000000002CAC: 7E760280
	v_mov_b32_e32 v107, 0                                      // 000000002CB0: 7ED60280
	v_mov_b32_e32 v60, 0                                       // 000000002CB4: 7E780280
	v_mov_b32_e32 v108, 0                                      // 000000002CB8: 7ED80280
	v_mov_b32_e32 v61, 0                                       // 000000002CBC: 7E7A0280
	v_mov_b32_e32 v109, 0                                      // 000000002CC0: 7EDA0280
	v_mov_b32_e32 v62, 0                                       // 000000002CC4: 7E7C0280
	v_mov_b32_e32 v110, 0                                      // 000000002CC8: 7EDC0280
	v_mov_b32_e32 v63, 0                                       // 000000002CCC: 7E7E0280
	v_mov_b32_e32 v111, 0                                      // 000000002CD0: 7EDE0280
	v_mov_b32_e32 v64, 0                                       // 000000002CD4: 7E800280
	v_mov_b32_e32 v112, 0                                      // 000000002CD8: 7EE00280
	v_mov_b32_e32 v65, 0                                       // 000000002CDC: 7E820280
	v_mov_b32_e32 v113, 0                                      // 000000002CE0: 7EE20280
	v_mov_b32_e32 v66, 0                                       // 000000002CE4: 7E840280
	v_mov_b32_e32 v114, 0                                      // 000000002CE8: 7EE40280
	v_mov_b32_e32 v67, 0                                       // 000000002CEC: 7E860280
	v_mov_b32_e32 v115, 0                                      // 000000002CF0: 7EE60280
	v_mov_b32_e32 v68, 0                                       // 000000002CF4: 7E880280
	v_mov_b32_e32 v116, 0                                      // 000000002CF8: 7EE80280
	v_mov_b32_e32 v69, 0                                       // 000000002CFC: 7E8A0280
	v_mov_b32_e32 v117, 0                                      // 000000002D00: 7EEA0280
	v_mov_b32_e32 v70, 0                                       // 000000002D04: 7E8C0280
	v_mov_b32_e32 v118, 0                                      // 000000002D08: 7EEC0280
	v_mov_b32_e32 v71, 0                                       // 000000002D0C: 7E8E0280
	v_mov_b32_e32 v119, 0                                      // 000000002D10: 7EEE0280
	v_mov_b32_e32 v72, 0                                       // 000000002D14: 7E900280
	v_mov_b32_e32 v120, 0                                      // 000000002D18: 7EF00280
	v_mov_b32_e32 v73, 0                                       // 000000002D1C: 7E920280
	v_mov_b32_e32 v121, 0                                      // 000000002D20: 7EF20280
	v_mov_b32_e32 v74, 0                                       // 000000002D24: 7E940280
	v_mov_b32_e32 v122, 0                                      // 000000002D28: 7EF40280
	v_mov_b32_e32 v75, 0                                       // 000000002D2C: 7E960280
	v_mov_b32_e32 v123, 0                                      // 000000002D30: 7EF60280
	v_mov_b32_e32 v76, 0                                       // 000000002D34: 7E980280
	v_mov_b32_e32 v124, 0                                      // 000000002D38: 7EF80280
	v_mov_b32_e32 v77, 0                                       // 000000002D3C: 7E9A0280
	v_mov_b32_e32 v125, 0                                      // 000000002D40: 7EFA0280
	v_mov_b32_e32 v78, 0                                       // 000000002D44: 7E9C0280
	v_mov_b32_e32 v126, 0                                      // 000000002D48: 7EFC0280
	v_mov_b32_e32 v79, 0                                       // 000000002D4C: 7E9E0280
	v_mov_b32_e32 v127, 0                                      // 000000002D50: 7EFE0280
	v_mov_b32_e32 v80, 0                                       // 000000002D54: 7EA00280
	v_mov_b32_e32 v128, 0                                      // 000000002D58: 7F000280
	v_mov_b32_e32 v81, 0                                       // 000000002D5C: 7EA20280
	v_mov_b32_e32 v129, 0                                      // 000000002D60: 7F020280
	v_mov_b32_e32 v82, 0                                       // 000000002D64: 7EA40280
	v_mov_b32_e32 v130, 0                                      // 000000002D68: 7F040280
	v_mov_b32_e32 v83, 0                                       // 000000002D6C: 7EA60280
	v_mov_b32_e32 v131, 0                                      // 000000002D70: 7F060280
	v_mov_b32_e32 v84, 0                                       // 000000002D74: 7EA80280
	v_mov_b32_e32 v132, 0                                      // 000000002D78: 7F080280
	v_mov_b32_e32 v85, 0                                       // 000000002D7C: 7EAA0280
	v_mov_b32_e32 v133, 0                                      // 000000002D80: 7F0A0280
	v_mov_b32_e32 v86, 0                                       // 000000002D84: 7EAC0280
	v_mov_b32_e32 v134, 0                                      // 000000002D88: 7F0C0280
	v_mov_b32_e32 v87, 0                                       // 000000002D8C: 7EAE0280
	v_mov_b32_e32 v135, 0                                      // 000000002D90: 7F0E0280
	v_mov_b32_e32 v88, 0                                       // 000000002D94: 7EB00280
	v_mov_b32_e32 v136, 0                                      // 000000002D98: 7F100280
	v_mov_b32_e32 v89, 0                                       // 000000002D9C: 7EB20280
	v_mov_b32_e32 v137, 0                                      // 000000002DA0: 7F120280
	v_mov_b32_e32 v90, 0                                       // 000000002DA4: 7EB40280
	v_mov_b32_e32 v138, 0                                      // 000000002DA8: 7F140280
	v_mov_b32_e32 v91, 0                                       // 000000002DAC: 7EB60280
	v_mov_b32_e32 v139, 0                                      // 000000002DB0: 7F160280
	v_mov_b32_e32 v92, 0                                       // 000000002DB4: 7EB80280
	v_mov_b32_e32 v140, 0                                      // 000000002DB8: 7F180280
	v_mov_b32_e32 v93, 0                                       // 000000002DBC: 7EBA0280
	v_mov_b32_e32 v141, 0                                      // 000000002DC0: 7F1A0280
	v_mov_b32_e32 v94, 0                                       // 000000002DC4: 7EBC0280
	v_mov_b32_e32 v142, 0                                      // 000000002DC8: 7F1C0280
	v_mov_b32_e32 v95, 0                                       // 000000002DCC: 7EBE0280
	v_mov_b32_e32 v143, 0                                      // 000000002DD0: 7F1E0280
	v_mov_b32_e32 v96, 0                                       // 000000002DD4: 7EC00280
	v_mov_b32_e32 v144, 0                                      // 000000002DD8: 7F200280
	v_mov_b32_e32 v97, 0                                       // 000000002DDC: 7EC20280
	v_mov_b32_e32 v145, 0                                      // 000000002DE0: 7F220280
	v_mov_b32_e32 v98, 0                                       // 000000002DE4: 7EC40280
	v_mov_b32_e32 v146, 0                                      // 000000002DE8: 7F240280
	v_mov_b32_e32 v99, 0                                       // 000000002DEC: 7EC60280
	v_mov_b32_e32 v147, 0                                      // 000000002DF0: 7F260280
	s_mul_i32 s60, s2, 0x100                                   // 000000002DF4: 923CFF02 00000100
	s_cmp_eq_u32 s88, 0                                        // 000000002DFC: BF068058
	s_cselect_b32 s61, 1, 4                                    // 000000002E00: 853D8481
	s_mul_i32 s60, s60, s61                                    // 000000002E04: 923C3D3C
	s_mov_b32 s90, s8                                          // 000000002E08: BEDA0008
	s_mov_b32 s91, s9                                          // 000000002E0C: BEDB0009
	s_add_u32 s8, s60, s8                                      // 000000002E10: 8008083C
	s_addc_u32 s9, 0, s9                                       // 000000002E14: 82090980
	v_lshrrev_b32_e32 v4, 4, v0                                // 000000002E18: 20080084
	v_mul_lo_u32 v20, 34, v4                                   // 000000002E1C: D2850014 000208A2
	v_and_b32_e32 v4, 15, v0                                   // 000000002E24: 2608008F
	v_mul_lo_u32 v5, 2, v4                                     // 000000002E28: D2850005 00020882
	v_add_u32_e32 v20, v5, v20                                 // 000000002E30: 68282905
	s_mul_i32 s60, s7, 0x88                                    // 000000002E34: 923CFF07 00000088
	v_add_u32_e32 v20, s60, v20                                // 000000002E3C: 6828283C
	v_lshlrev_b32_e32 v20, 2, v20                              // 000000002E40: 24282882
	v_and_b32_e32 v4, 31, v0                                   // 000000002E44: 2608009F
	v_lshrrev_b32_e32 v4, 1, v4                                // 000000002E48: 20080881
	v_mul_lo_u32 v21, 34, v4                                   // 000000002E4C: D2850015 000208A2
	v_lshrrev_b32_e32 v4, 5, v0                                // 000000002E54: 20080085
	v_mul_lo_u32 v4, 8, v4                                     // 000000002E58: D2850004 00020888
	v_add_u32_e32 v21, v21, v4                                 // 000000002E60: 682A0915
	v_and_b32_e32 v5, 1, v0                                    // 000000002E64: 260A0081
	v_add_u32_e32 v21, v5, v21                                 // 000000002E68: 682A2B05
	s_mul_i32 s60, s7, 2                                       // 000000002E6C: 923C8207
	v_add_u32_e32 v21, s60, v21                                // 000000002E70: 682A2A3C
	v_lshlrev_b32_e32 v21, 2, v21                              // 000000002E74: 242A2A82
	s_mul_i32 s60, s7, 0x620                                   // 000000002E78: 923CFF07 00000620
	s_add_u32 s48, 0, s60                                      // 000000002E80: 80303C80
	s_add_u32 s49, 0x1880, s48                                 // 000000002E84: 803130FF 00001880
	s_add_u32 s50, 0x1880, s49                                 // 000000002E8C: 803231FF 00001880
	v_lshrrev_b32_e32 v4, 4, v0                                // 000000002E94: 20080084
	v_lshlrev_b32_e32 v5, 2, v4                                // 000000002E98: 240A0882
	v_and_b32_e32 v4, 15, v0                                   // 000000002E9C: 2608008F
	v_lshrrev_b32_e32 v6, 2, v4                                // 000000002EA0: 200C0882
	v_lshlrev_b32_e32 v6, 5, v6                                // 000000002EA4: 240C0C85
	v_add_u32_e32 v5, v6, v5                                   // 000000002EA8: 680A0B06
	v_and_b32_e32 v4, 3, v0                                    // 000000002EAC: 26080083
	v_mul_u32_u24_e32 v6, 0x188, v4                            // 000000002EB0: 100C08FF 00000188
	v_add_u32_e32 v5, v6, v5                                   // 000000002EB8: 680A0B06
	v_lshlrev_b32_e32 v2, 2, v5                                // 000000002EBC: 24040A82
	s_waitcnt lgkmcnt(0)                                       // 000000002EC0: BF8CC07F
	s_mul_i32 s60, s2, 0x100                                   // 000000002EC4: 923CFF02 00000100
	s_mul_i32 s60, s60, s69                                    // 000000002ECC: 923C453C
	s_mul_i32 s61, s5, s72                                     // 000000002ED0: 923D4805
	s_add_u32 s60, s61, s60                                    // 000000002ED4: 803C3C3D
	s_add_u32 s24, s60, s24                                    // 000000002ED8: 8018183C
	s_addc_u32 s25, 0, s25                                     // 000000002EDC: 82191980
	s_lshr_b32 s60, s64, s88                                   // 000000002EE0: 8F3C5840
	s_mul_i32 s60, s4, s60                                     // 000000002EE4: 923C3C04
	s_lshr_b32 s60, s60, 7                                     // 000000002EE8: 8F3C873C
	s_mul_i32 s60, s60, 0x800                                  // 000000002EEC: 923CFF3C 00000800
	s_add_u32 s24, s60, s24                                    // 000000002EF4: 8018183C
	s_addc_u32 s25, 0, s25                                     // 000000002EF8: 82191980
	s_lshr_b32 s60, s69, s88                                   // 000000002EFC: 8F3C5845
	s_mul_i32 s60, s4, s60                                     // 000000002F00: 923C3C04
	s_add_u32 s20, s60, s20                                    // 000000002F04: 8014143C
	s_addc_u32 s21, 0, s21                                     // 000000002F08: 82151580
	s_mul_i32 s60, s7, 16                                      // 000000002F0C: 923C9007
	s_mul_i32 s60, s60, s69                                    // 000000002F10: 923C453C
	v_lshlrev_b32_e32 v48, 4, v0                               // 000000002F14: 24600084
	v_add_u32_e32 v48, s60, v48                                // 000000002F18: 6860603C
	s_mul_i32 s60, 64, s69                                     // 000000002F1C: 923C45C0
	v_add_u32_e32 v49, s60, v48                                // 000000002F20: 6862603C
	v_add_u32_e32 v50, s60, v49                                // 000000002F24: 6864623C
	v_add_u32_e32 v51, s60, v50                                // 000000002F28: 6866643C
	s_mov_b32 s84, s24                                         // 000000002F2C: BED40018
	s_mov_b32 s85, s25                                         // 000000002F30: BED50019
	s_mov_b32 s86, s26                                         // 000000002F34: BED6001A
	s_mov_b32 s87, s27                                         // 000000002F38: BED7001B
	s_mul_i32 s60, s69, s65                                    // 000000002F3C: 923C4145
	s_add_u32 s84, s60, s84                                    // 000000002F40: 8054543C
	s_addc_u32 s85, 0, s85                                     // 000000002F44: 82555580
	s_lshr_b32 s60, s64, 7                                     // 000000002F48: 8F3C8740
	s_mul_i32 s61, s60, 4                                      // 000000002F4C: 923D843C
	v_and_b32_e32 v22, 15, v0                                  // 000000002F50: 262C008F
	v_mul_lo_u32 v22, v22, s61                                 // 000000002F54: D2850016 00007B16
	s_lshr_b32 s60, s65, 7                                     // 000000002F5C: 8F3C8741
	s_mul_i32 s60, s60, s61                                    // 000000002F60: 923C3D3C
	v_add_u32_e64 v23, v22, s60                                // 000000002F64: D1340017 00007916
	s_mul_i32 s60, s2, 2                                       // 000000002F6C: 923C8202
	s_mul_i32 s60, s60, s61                                    // 000000002F70: 923C3D3C
	s_mul_i32 s61, s5, s74                                     // 000000002F74: 923D4A05
	s_add_u32 s61, s61, s60                                    // 000000002F78: 803D3C3D
	s_add_u32 s32, s61, s32                                    // 000000002F7C: 8020203D
	s_addc_u32 s33, 0, s33                                     // 000000002F80: 82212180
	s_lshr_b32 s60, s64, 7                                     // 000000002F84: 8F3C8740
	s_lshr_b32 s60, s60, s88                                   // 000000002F88: 8F3C583C
	s_mul_i32 s60, s4, s60                                     // 000000002F8C: 923C3C04
	s_mul_i32 s61, s60, 4                                      // 000000002F90: 923D843C
	s_add_u32 s32, s61, s32                                    // 000000002F94: 8020203D
	s_addc_u32 s33, 0, s33                                     // 000000002F98: 82212180
	s_lshl_b32 s62, s66, 2                                     // 000000002F9C: 8E3E8242
	s_mul_i32 s62, s60, s62                                    // 000000002FA0: 923E3E3C
	s_add_u32 s28, s62, s28                                    // 000000002FA4: 801C1C3E
	s_addc_u32 s29, 0, s29                                     // 000000002FA8: 821D1D80
	s_mov_b32 s4, 4                                            // 000000002FAC: BE840084
	s_mov_b32 s57, 0x80                                        // 000000002FB0: BEB900FF 00000080
	s_mov_b32 s58, 0x800                                       // 000000002FB8: BEBA00FF 00000800
	s_mov_b32 s83, s58                                         // 000000002FC0: BED3003A
	s_mov_b32 s52, 0x7060302                                   // 000000002FC4: BEB400FF 07060302
	s_mov_b32 s53, 0x400                                       // 000000002FCC: BEB500FF 00000400
	s_mov_b32 s54, 0x40100                                     // 000000002FD4: BEB600FF 00040100
	s_mov_b32 s55, 0x4020100                                   // 000000002FDC: BEB700FF 04020100
	s_mov_b32 s6, 0x3fb8aa3b                                   // 000000002FE4: BE8600FF 3FB8AA3B
	s_mov_b32 s78, 0xbd92220c                                  // 000000002FEC: BECE00FF BD92220C
	s_mov_b32 s79, 0xbd92220c                                  // 000000002FF4: BECF00FF BD92220C
	s_mov_b32 m0, s48                                          // 000000002FFC: BEFC0030
	v_mov_b32_e32 v1, 0xbfcc4231                               // 000000003000: 7E0202FF BFCC4231
	v_mov_b32_e32 v17, 0xffff0000                              // 000000003008: 7E2202FF FFFF0000
	v_mov_b32_e32 v18, 0x7fff0000                              // 000000003010: 7E2402FF 7FFF0000
	v_mov_b32_e32 v19, 0x7fff                                  // 000000003018: 7E2602FF 00007FFF
	s_waitcnt vmcnt(0) expcnt(0) lgkmcnt(0)                    // 000000003020: BF8C0000
	v_lshrrev_b32_e32 v4, 5, v0                                // 000000003024: 20080085
	v_xor_b32_e32 v5, 1, v4                                    // 000000003028: 2A0A0881
	v_readlane_b32 s82, v3, 0                                  // 00000000302C: D2890052 00010103
	s_and_b32 s82, s82, 0xffffff                               // 000000003034: 8652FF52 00FFFFFF
	v_mul_lo_u32 v6, v5, s82                                   // 00000000303C: D2850006 0000A505
	v_readlane_b32 s82, v3, 1                                  // 000000003044: D2890052 00010303
	s_and_b32 s82, s82, 0xffffff                               // 00000000304C: 8652FF52 00FFFFFF
	v_mul_lo_u32 v7, v4, s82                                   // 000000003054: D2850007 0000A504
	v_add_u32_e32 v42, v6, v7                                  // 00000000305C: 68540F06
	v_mul_lo_u32 v42, v42, s68                                 // 000000003060: D285002A 0000892A
	v_readlane_b32 s82, v3, 2                                  // 000000003068: D2890052 00010503
	s_and_b32 s82, s82, 0xffffff                               // 000000003070: 8652FF52 00FFFFFF
	v_mul_lo_u32 v6, v5, s82                                   // 000000003078: D2850006 0000A505
	v_readlane_b32 s82, v3, 3                                  // 000000003080: D2890052 00010703
	s_and_b32 s82, s82, 0xffffff                               // 000000003088: 8652FF52 00FFFFFF
	v_mul_lo_u32 v7, v4, s82                                   // 000000003090: D2850007 0000A504
	v_add_u32_e32 v43, v6, v7                                  // 000000003098: 68560F06
	v_mul_lo_u32 v43, v43, s68                                 // 00000000309C: D285002B 0000892B
	v_readlane_b32 s82, v3, 4                                  // 0000000030A4: D2890052 00010903
	s_and_b32 s82, s82, 0xffffff                               // 0000000030AC: 8652FF52 00FFFFFF
	v_mul_lo_u32 v6, v5, s82                                   // 0000000030B4: D2850006 0000A505
	v_readlane_b32 s82, v3, 5                                  // 0000000030BC: D2890052 00010B03
	s_and_b32 s82, s82, 0xffffff                               // 0000000030C4: 8652FF52 00FFFFFF
	v_mul_lo_u32 v7, v4, s82                                   // 0000000030CC: D2850007 0000A504
	v_add_u32_e32 v44, v6, v7                                  // 0000000030D4: 68580F06
	v_mul_lo_u32 v44, v44, s68                                 // 0000000030D8: D285002C 0000892C
	v_readlane_b32 s82, v3, 6                                  // 0000000030E0: D2890052 00010D03
	s_and_b32 s82, s82, 0xffffff                               // 0000000030E8: 8652FF52 00FFFFFF
	v_mul_lo_u32 v6, v5, s82                                   // 0000000030F0: D2850006 0000A505
	v_readlane_b32 s82, v3, 7                                  // 0000000030F8: D2890052 00010F03
	s_and_b32 s82, s82, 0xffffff                               // 000000003100: 8652FF52 00FFFFFF
	v_mul_lo_u32 v7, v4, s82                                   // 000000003108: D2850007 0000A504
	v_add_u32_e32 v45, v6, v7                                  // 000000003110: 685A0F06
	v_mul_lo_u32 v45, v45, s68                                 // 000000003114: D285002D 0000892D
	v_readlane_b32 s82, v3, 8                                  // 00000000311C: D2890052 00011103
	s_and_b32 s82, s82, 0xffffff                               // 000000003124: 8652FF52 00FFFFFF
	v_mul_lo_u32 v6, v5, s82                                   // 00000000312C: D2850006 0000A505
	v_readlane_b32 s82, v3, 9                                  // 000000003134: D2890052 00011303
	s_and_b32 s82, s82, 0xffffff                               // 00000000313C: 8652FF52 00FFFFFF
	v_mul_lo_u32 v7, v4, s82                                   // 000000003144: D2850007 0000A504
	v_add_u32_e32 v46, v6, v7                                  // 00000000314C: 685C0F06
	v_mul_lo_u32 v46, v46, s68                                 // 000000003150: D285002E 0000892E
	v_readlane_b32 s82, v3, 10                                 // 000000003158: D2890052 00011503
	s_and_b32 s82, s82, 0xffffff                               // 000000003160: 8652FF52 00FFFFFF
	v_mul_lo_u32 v6, v5, s82                                   // 000000003168: D2850006 0000A505
	v_readlane_b32 s82, v3, 11                                 // 000000003170: D2890052 00011703
	s_and_b32 s82, s82, 0xffffff                               // 000000003178: 8652FF52 00FFFFFF
	v_mul_lo_u32 v7, v4, s82                                   // 000000003180: D2850007 0000A504
	v_add_u32_e32 v47, v6, v7                                  // 000000003188: 685E0F06
	v_mul_lo_u32 v47, v47, s68                                 // 00000000318C: D285002F 0000892F
	v_and_b32_e32 v4, 31, v0                                   // 000000003194: 2608009F
	v_lshlrev_b32_e32 v4, 2, v4                                // 000000003198: 24080882
	v_add_u32_e32 v42, v42, v4                                 // 00000000319C: 6854092A
	v_add_u32_e32 v43, v43, v4                                 // 0000000031A0: 6856092B
	v_add_u32_e32 v44, v44, v4                                 // 0000000031A4: 6858092C
	v_add_u32_e32 v45, v45, v4                                 // 0000000031A8: 685A092D
	v_add_u32_e32 v46, v46, v4                                 // 0000000031AC: 685C092E
	v_add_u32_e32 v47, v47, v4                                 // 0000000031B0: 685E092F
	v_and_b32_e32 v30, 0xffffff, v30                           // 0000000031B4: 263C3CFF 00FFFFFF
	v_lshlrev_b32_e32 v30, 2, v30                              // 0000000031BC: 243C3C82
	v_and_b32_e32 v31, 0xffffff, v31                           // 0000000031C0: 263E3EFF 00FFFFFF
	v_lshlrev_b32_e32 v31, 2, v31                              // 0000000031C8: 243E3E82
	v_and_b32_e32 v32, 0xffffff, v32                           // 0000000031CC: 264040FF 00FFFFFF
	v_lshlrev_b32_e32 v32, 2, v32                              // 0000000031D4: 24404082
	s_lshl_b32 s3, s66, 2                                      // 0000000031D8: 8E038242
	buffer_load_dword v42, s[20:23], 0 offen lds               // 0000000031DC: E0511000 8005002A
	s_add_u32 m0, 0x100, s48                                   // 0000000031E4: 807C30FF 00000100
	buffer_load_dword v43, s[20:23], 0 offen lds               // 0000000031EC: E0511000 8005002B
	s_add_u32 m0, 0x200, s48                                   // 0000000031F4: 807C30FF 00000200
	buffer_load_dword v44, s[20:23], 0 offen lds               // 0000000031FC: E0511000 8005002C
	s_add_u32 m0, 0x300, s48                                   // 000000003204: 807C30FF 00000300
	buffer_load_dword v45, s[20:23], 0 offen lds               // 00000000320C: E0511000 8005002D
	s_add_u32 m0, 0x400, s48                                   // 000000003214: 807C30FF 00000400
	buffer_load_dword v46, s[20:23], 0 offen lds               // 00000000321C: E0511000 8005002E
	s_add_u32 m0, 0x500, s48                                   // 000000003224: 807C30FF 00000500
	buffer_load_dword v47, s[20:23], 0 offen lds               // 00000000322C: E0511000 8005002F
	s_add_u32 m0, 0, s49                                       // 000000003234: 807C3180
	s_add_u32 s20, s57, s20                                    // 000000003238: 80141439
	s_addc_u32 s21, 0, s21                                     // 00000000323C: 82151580
	buffer_load_dword v33, v30, s[28:31], 0 offen              // 000000003240: E0501000 8007211E
	buffer_load_dword v34, v31, s[28:31], 0 offen              // 000000003248: E0501000 8007221F
	buffer_load_dword v35, v32, s[28:31], 0 offen              // 000000003250: E0501000 80072320
	s_add_u32 s28, s3, s28                                     // 000000003258: 801C1C03
	s_addc_u32 s29, 0, s29                                     // 00000000325C: 821D1D80
	buffer_load_dwordx4 a[48:51], v48, s[24:27], 0 offen       // 000000003260: E05C1000 80863030
	buffer_load_dwordx4 a[52:55], v48, s[24:27], 0 offen offset:1024// 000000003268: E05C1400 80863430
	buffer_load_dwordx4 a[56:59], v49, s[24:27], 0 offen       // 000000003270: E05C1000 80863831
	buffer_load_dwordx4 a[60:63], v49, s[24:27], 0 offen offset:1024// 000000003278: E05C1400 80863C31
	buffer_load_dwordx4 a[64:67], v50, s[24:27], 0 offen       // 000000003280: E05C1000 80864032
	buffer_load_dwordx4 a[68:71], v50, s[24:27], 0 offen offset:1024// 000000003288: E05C1400 80864432
	buffer_load_dwordx4 a[72:75], v51, s[24:27], 0 offen       // 000000003290: E05C1000 80864833
	buffer_load_dwordx4 a[76:79], v51, s[24:27], 0 offen offset:1024// 000000003298: E05C1400 80864C33
	s_add_u32 s24, s58, s24                                    // 0000000032A0: 8018183A
	s_addc_u32 s25, 0, s25                                     // 0000000032A4: 82191980
	buffer_load_dword v24, v22, s[32:35], 0 offen              // 0000000032A8: E0501000 80081816
	buffer_load_dword v42, s[20:23], 0 offen lds               // 0000000032B0: E0511000 8005002A
	s_add_u32 m0, 0x100, s49                                   // 0000000032B8: 807C31FF 00000100
	buffer_load_dword v43, s[20:23], 0 offen lds               // 0000000032C0: E0511000 8005002B
	s_add_u32 m0, 0x200, s49                                   // 0000000032C8: 807C31FF 00000200
	buffer_load_dword v44, s[20:23], 0 offen lds               // 0000000032D0: E0511000 8005002C
	s_add_u32 m0, 0x300, s49                                   // 0000000032D8: 807C31FF 00000300
	buffer_load_dword v45, s[20:23], 0 offen lds               // 0000000032E0: E0511000 8005002D
	s_add_u32 m0, 0x400, s49                                   // 0000000032E8: 807C31FF 00000400
	buffer_load_dword v46, s[20:23], 0 offen lds               // 0000000032F0: E0511000 8005002E
	s_add_u32 m0, 0x500, s49                                   // 0000000032F8: 807C31FF 00000500
	buffer_load_dword v47, s[20:23], 0 offen lds               // 000000003300: E0511000 8005002F
	s_add_u32 m0, 0, s50                                       // 000000003308: 807C3280
	s_add_u32 s20, s57, s20                                    // 00000000330C: 80141439
	s_addc_u32 s21, 0, s21                                     // 000000003310: 82151580
	buffer_load_dword v36, v30, s[28:31], 0 offen              // 000000003314: E0501000 8007241E
	buffer_load_dword v37, v31, s[28:31], 0 offen              // 00000000331C: E0501000 8007251F
	buffer_load_dword v38, v32, s[28:31], 0 offen              // 000000003324: E0501000 80072620
	s_add_u32 s28, s3, s28                                     // 00000000332C: 801C1C03
	s_addc_u32 s29, 0, s29                                     // 000000003330: 821D1D80
	buffer_load_dwordx4 a[80:83], v48, s[84:87], 0 offen       // 000000003334: E05C1000 80955030
	buffer_load_dwordx4 a[84:87], v48, s[84:87], 0 offen offset:1024// 00000000333C: E05C1400 80955430
	buffer_load_dwordx4 a[88:91], v49, s[84:87], 0 offen       // 000000003344: E05C1000 80955831
	buffer_load_dwordx4 a[92:95], v49, s[84:87], 0 offen offset:1024// 00000000334C: E05C1400 80955C31
	buffer_load_dwordx4 a[96:99], v50, s[84:87], 0 offen       // 000000003354: E05C1000 80956032
	buffer_load_dwordx4 a[100:103], v50, s[84:87], 0 offen offset:1024// 00000000335C: E05C1400 80956432
	buffer_load_dwordx4 a[104:107], v51, s[84:87], 0 offen     // 000000003364: E05C1000 80956833
	buffer_load_dwordx4 a[108:111], v51, s[84:87], 0 offen offset:1024// 00000000336C: E05C1400 80956C33
	s_add_u32 s84, s83, s84                                    // 000000003374: 80545453
	s_addc_u32 s85, 0, s85                                     // 000000003378: 82555580
	buffer_load_dword v27, v23, s[32:35], 0 offen              // 00000000337C: E0501000 80081B17
	s_add_u32 s32, s4, s32                                     // 000000003384: 80202004
	s_addc_u32 s33, 0, s33                                     // 000000003388: 82212180
	s_waitcnt vmcnt(30)                                        // 00000000338C: BF8C4F7E
	s_barrier                                                  // 000000003390: BF8A0000
	ds_read_b128 a[0:3], v2                                    // 000000003394: DBFE0000 00000002
	ds_read_b128 a[4:7], v2 offset:64                          // 00000000339C: DBFE0040 04000002
	ds_read_b128 a[8:11], v2 offset:512                        // 0000000033A4: DBFE0200 08000002
	ds_read_b128 a[12:15], v2 offset:576                       // 0000000033AC: DBFE0240 0C000002
	ds_read_b128 a[16:19], v2 offset:1024                      // 0000000033B4: DBFE0400 10000002
	ds_read_b128 a[20:23], v2 offset:1088                      // 0000000033BC: DBFE0440 14000002
	s_cmp_lt_i32 s7, 2                                         // 0000000033C4: BF048207
	s_cbranch_scc0 label_19AA                                  // 0000000033C8: BF841734

00000000000033cc <label_0273>:
	s_waitcnt vmcnt(18) lgkmcnt(0)                             // 0000000033CC: BF8C4072
	v_mul_f32_dpp v4, v24, v33 row_newbcast:0 row_mask:0xf bank_mask:0xf// 0000000033D0: 0A0842FA FF015018
	v_mfma_f32_16x16x32_fp8_fp8 v[8:11], a[48:49], a[0:1], 0   // 0000000033D8: D3F30008 1A020130
	buffer_load_dword v25, v22, s[32:35], 0 offen              // 0000000033E0: E0501000 80081916
	v_mfma_f32_16x16x32_fp8_fp8 v[8:11], a[50:51], a[2:3], v[8:11]// 0000000033E8: D3F30008 1C220532
	buffer_load_dwordx4 a[112:115], v48, s[24:27], 0 offen     // 0000000033F0: E05C1000 80867030
	v_mfma_f32_16x16x32_fp8_fp8 v[8:11], a[52:53], a[4:5], v[8:11]// 0000000033F8: D3F30008 1C220934
	v_mfma_f32_16x16x32_fp8_fp8 v[8:11], a[54:55], a[6:7], v[8:11]// 000000003400: D3F30008 1C220D36
	v_mfma_f32_16x16x32_fp8_fp8 v[12:15], a[56:57], a[0:1], 0  // 000000003408: D3F3000C 1A020138
	v_mfma_f32_16x16x32_fp8_fp8 v[12:15], a[58:59], a[2:3], v[12:15]// 000000003410: D3F3000C 1C32053A
	buffer_load_dwordx4 a[116:119], v48, s[24:27], 0 offen offset:1024// 000000003418: E05C1400 80867430
	v_mfma_f32_16x16x32_fp8_fp8 v[12:15], a[60:61], a[4:5], v[12:15]// 000000003420: D3F3000C 1C32093C
	v_mfma_f32_16x16x32_fp8_fp8 v[12:15], a[62:63], a[6:7], v[12:15]// 000000003428: D3F3000C 1C320D3E
	v_fma_f32 v52, v8, v4, v52                                 // 000000003430: D1CB0034 04D20908
	v_fma_f32 v53, v9, v4, v53                                 // 000000003438: D1CB0035 04D60909
	v_fma_f32 v54, v10, v4, v54                                // 000000003440: D1CB0036 04DA090A
	v_fma_f32 v55, v11, v4, v55                                // 000000003448: D1CB0037 04DE090B
	v_mul_f32_dpp v6, v24, v33 row_newbcast:1 row_mask:0xf bank_mask:0xf// 000000003450: 0A0C42FA FF015118
	v_mfma_f32_16x16x32_fp8_fp8 v[8:11], a[64:65], a[0:1], 0   // 000000003458: D3F30008 1A020140
	v_mfma_f32_16x16x32_fp8_fp8 v[8:11], a[66:67], a[2:3], v[8:11]// 000000003460: D3F30008 1C220542
	buffer_load_dwordx4 a[120:123], v49, s[24:27], 0 offen     // 000000003468: E05C1000 80867831
	v_mfma_f32_16x16x32_fp8_fp8 v[8:11], a[68:69], a[4:5], v[8:11]// 000000003470: D3F30008 1C220944
	v_mfma_f32_16x16x32_fp8_fp8 v[8:11], a[70:71], a[6:7], v[8:11]// 000000003478: D3F30008 1C220D46
	v_fma_f32 v64, v12, v4, v64                                // 000000003480: D1CB0040 0502090C
	v_fma_f32 v65, v13, v4, v65                                // 000000003488: D1CB0041 0506090D
	v_fma_f32 v66, v14, v4, v66                                // 000000003490: D1CB0042 050A090E
	v_fma_f32 v67, v15, v4, v67                                // 000000003498: D1CB0043 050E090F
	v_mfma_f32_16x16x32_fp8_fp8 v[12:15], a[72:73], a[0:1], 0  // 0000000034A0: D3F3000C 1A020148
	v_mfma_f32_16x16x32_fp8_fp8 v[12:15], a[74:75], a[2:3], v[12:15]// 0000000034A8: D3F3000C 1C32054A
	buffer_load_dwordx4 a[124:127], v49, s[24:27], 0 offen offset:1024// 0000000034B0: E05C1400 80867C31
	v_mfma_f32_16x16x32_fp8_fp8 v[12:15], a[76:77], a[4:5], v[12:15]// 0000000034B8: D3F3000C 1C32094C
	v_mfma_f32_16x16x32_fp8_fp8 v[12:15], a[78:79], a[6:7], v[12:15]// 0000000034C0: D3F3000C 1C320D4E
	v_fma_f32 v76, v8, v6, v76                                 // 0000000034C8: D1CB004C 05320D08
	v_fma_f32 v77, v9, v6, v77                                 // 0000000034D0: D1CB004D 05360D09
	v_fma_f32 v78, v10, v6, v78                                // 0000000034D8: D1CB004E 053A0D0A
	v_fma_f32 v79, v11, v6, v79                                // 0000000034E0: D1CB004F 053E0D0B
	v_mul_f32_dpp v4, v24, v34 row_newbcast:0 row_mask:0xf bank_mask:0xf// 0000000034E8: 0A0844FA FF015018
	v_mfma_f32_16x16x32_fp8_fp8 v[8:11], a[48:49], a[8:9], 0   // 0000000034F0: D3F30008 1A021130
	v_mfma_f32_16x16x32_fp8_fp8 v[8:11], a[50:51], a[10:11], v[8:11]// 0000000034F8: D3F30008 1C221532
	buffer_load_dwordx4 a[128:131], v50, s[24:27], 0 offen     // 000000003500: E05C1000 80868032
	v_mfma_f32_16x16x32_fp8_fp8 v[8:11], a[52:53], a[12:13], v[8:11]// 000000003508: D3F30008 1C221934
	v_mfma_f32_16x16x32_fp8_fp8 v[8:11], a[54:55], a[14:15], v[8:11]// 000000003510: D3F30008 1C221D36
	v_fma_f32 v88, v12, v6, v88                                // 000000003518: D1CB0058 05620D0C
	v_fma_f32 v89, v13, v6, v89                                // 000000003520: D1CB0059 05660D0D
	v_fma_f32 v90, v14, v6, v90                                // 000000003528: D1CB005A 056A0D0E
	v_fma_f32 v91, v15, v6, v91                                // 000000003530: D1CB005B 056E0D0F
	v_mfma_f32_16x16x32_fp8_fp8 v[12:15], a[56:57], a[8:9], 0  // 000000003538: D3F3000C 1A021138
	v_mfma_f32_16x16x32_fp8_fp8 v[12:15], a[58:59], a[10:11], v[12:15]// 000000003540: D3F3000C 1C32153A
	buffer_load_dwordx4 a[132:135], v50, s[24:27], 0 offen offset:1024// 000000003548: E05C1400 80868432
	v_mfma_f32_16x16x32_fp8_fp8 v[12:15], a[60:61], a[12:13], v[12:15]// 000000003550: D3F3000C 1C32193C
	v_mfma_f32_16x16x32_fp8_fp8 v[12:15], a[62:63], a[14:15], v[12:15]// 000000003558: D3F3000C 1C321D3E
	v_fma_f32 v56, v8, v4, v56                                 // 000000003560: D1CB0038 04E20908
	v_fma_f32 v57, v9, v4, v57                                 // 000000003568: D1CB0039 04E60909
	v_fma_f32 v58, v10, v4, v58                                // 000000003570: D1CB003A 04EA090A
	v_fma_f32 v59, v11, v4, v59                                // 000000003578: D1CB003B 04EE090B
	v_mul_f32_dpp v6, v24, v34 row_newbcast:1 row_mask:0xf bank_mask:0xf// 000000003580: 0A0C44FA FF015118
	v_mfma_f32_16x16x32_fp8_fp8 v[8:11], a[64:65], a[8:9], 0   // 000000003588: D3F30008 1A021140
	v_mfma_f32_16x16x32_fp8_fp8 v[8:11], a[66:67], a[10:11], v[8:11]// 000000003590: D3F30008 1C221542
	buffer_load_dwordx4 a[136:139], v51, s[24:27], 0 offen     // 000000003598: E05C1000 80868833
	v_mfma_f32_16x16x32_fp8_fp8 v[8:11], a[68:69], a[12:13], v[8:11]// 0000000035A0: D3F30008 1C221944
	v_mfma_f32_16x16x32_fp8_fp8 v[8:11], a[70:71], a[14:15], v[8:11]// 0000000035A8: D3F30008 1C221D46
	v_fma_f32 v68, v12, v4, v68                                // 0000000035B0: D1CB0044 0512090C
	v_fma_f32 v69, v13, v4, v69                                // 0000000035B8: D1CB0045 0516090D
	v_fma_f32 v70, v14, v4, v70                                // 0000000035C0: D1CB0046 051A090E
	v_fma_f32 v71, v15, v4, v71                                // 0000000035C8: D1CB0047 051E090F
	v_mfma_f32_16x16x32_fp8_fp8 v[12:15], a[72:73], a[8:9], 0  // 0000000035D0: D3F3000C 1A021148
	v_mfma_f32_16x16x32_fp8_fp8 v[12:15], a[74:75], a[10:11], v[12:15]// 0000000035D8: D3F3000C 1C32154A
	buffer_load_dwordx4 a[140:143], v51, s[24:27], 0 offen offset:1024// 0000000035E0: E05C1400 80868C33
	buffer_load_dword v42, s[20:23], 0 offen lds               // 0000000035E8: E0511000 8005002A
	s_add_u32 m0, 0x100, s50                                   // 0000000035F0: 807C32FF 00000100
	v_mfma_f32_16x16x32_fp8_fp8 v[12:15], a[76:77], a[12:13], v[12:15]// 0000000035F8: D3F3000C 1C32194C
	v_mfma_f32_16x16x32_fp8_fp8 v[12:15], a[78:79], a[14:15], v[12:15]// 000000003600: D3F3000C 1C321D4E
	buffer_load_dword v43, s[20:23], 0 offen lds               // 000000003608: E0511000 8005002B
	s_add_u32 m0, 0x200, s50                                   // 000000003610: 807C32FF 00000200
	v_fma_f32 v80, v8, v6, v80                                 // 000000003618: D1CB0050 05420D08
	v_fma_f32 v81, v9, v6, v81                                 // 000000003620: D1CB0051 05460D09
	v_fma_f32 v82, v10, v6, v82                                // 000000003628: D1CB0052 054A0D0A
	v_fma_f32 v83, v11, v6, v83                                // 000000003630: D1CB0053 054E0D0B
	v_mul_f32_dpp v4, v24, v35 row_newbcast:0 row_mask:0xf bank_mask:0xf// 000000003638: 0A0846FA FF015018
	v_mfma_f32_16x16x32_fp8_fp8 v[8:11], a[48:49], a[16:17], 0 // 000000003640: D3F30008 1A022130
	v_mfma_f32_16x16x32_fp8_fp8 v[8:11], a[50:51], a[18:19], v[8:11]// 000000003648: D3F30008 1C222532
	buffer_load_dword v44, s[20:23], 0 offen lds               // 000000003650: E0511000 8005002C
	s_add_u32 m0, 0x300, s50                                   // 000000003658: 807C32FF 00000300
	v_mfma_f32_16x16x32_fp8_fp8 v[8:11], a[52:53], a[20:21], v[8:11]// 000000003660: D3F30008 1C222934
	v_mfma_f32_16x16x32_fp8_fp8 v[8:11], a[54:55], a[22:23], v[8:11]// 000000003668: D3F30008 1C222D36
	buffer_load_dword v45, s[20:23], 0 offen lds               // 000000003670: E0511000 8005002D
	s_add_u32 m0, 0x400, s50                                   // 000000003678: 807C32FF 00000400
	v_fma_f32 v92, v12, v6, v92                                // 000000003680: D1CB005C 05720D0C
	v_fma_f32 v93, v13, v6, v93                                // 000000003688: D1CB005D 05760D0D
	v_fma_f32 v94, v14, v6, v94                                // 000000003690: D1CB005E 057A0D0E
	v_fma_f32 v95, v15, v6, v95                                // 000000003698: D1CB005F 057E0D0F
	v_mfma_f32_16x16x32_fp8_fp8 v[12:15], a[56:57], a[16:17], 0// 0000000036A0: D3F3000C 1A022138
	v_mfma_f32_16x16x32_fp8_fp8 v[12:15], a[58:59], a[18:19], v[12:15]// 0000000036A8: D3F3000C 1C32253A
	buffer_load_dword v46, s[20:23], 0 offen lds               // 0000000036B0: E0511000 8005002E
	s_add_u32 m0, 0x500, s50                                   // 0000000036B8: 807C32FF 00000500
	v_mfma_f32_16x16x32_fp8_fp8 v[12:15], a[60:61], a[20:21], v[12:15]// 0000000036C0: D3F3000C 1C32293C
	v_mfma_f32_16x16x32_fp8_fp8 v[12:15], a[62:63], a[22:23], v[12:15]// 0000000036C8: D3F3000C 1C322D3E
	buffer_load_dword v47, s[20:23], 0 offen lds               // 0000000036D0: E0511000 8005002F
	s_add_u32 m0, 0, s48                                       // 0000000036D8: 807C3080
	v_fma_f32 v60, v8, v4, v60                                 // 0000000036DC: D1CB003C 04F20908
	v_fma_f32 v61, v9, v4, v61                                 // 0000000036E4: D1CB003D 04F60909
	v_fma_f32 v62, v10, v4, v62                                // 0000000036EC: D1CB003E 04FA090A
	v_fma_f32 v63, v11, v4, v63                                // 0000000036F4: D1CB003F 04FE090B
	v_mul_f32_dpp v6, v24, v35 row_newbcast:1 row_mask:0xf bank_mask:0xf// 0000000036FC: 0A0C46FA FF015118
	v_mfma_f32_16x16x32_fp8_fp8 v[8:11], a[64:65], a[16:17], 0 // 000000003704: D3F30008 1A022140
	v_mfma_f32_16x16x32_fp8_fp8 v[8:11], a[66:67], a[18:19], v[8:11]// 00000000370C: D3F30008 1C222542
	buffer_load_dword v39, v30, s[28:31], 0 offen              // 000000003714: E0501000 8007271E
	v_mfma_f32_16x16x32_fp8_fp8 v[8:11], a[68:69], a[20:21], v[8:11]// 00000000371C: D3F30008 1C222944
	v_mfma_f32_16x16x32_fp8_fp8 v[8:11], a[70:71], a[22:23], v[8:11]// 000000003724: D3F30008 1C222D46
	buffer_load_dword v40, v31, s[28:31], 0 offen              // 00000000372C: E0501000 8007281F
	v_fma_f32 v72, v12, v4, v72                                // 000000003734: D1CB0048 0522090C
	v_fma_f32 v73, v13, v4, v73                                // 00000000373C: D1CB0049 0526090D
	v_fma_f32 v74, v14, v4, v74                                // 000000003744: D1CB004A 052A090E
	v_fma_f32 v75, v15, v4, v75                                // 00000000374C: D1CB004B 052E090F
	v_mfma_f32_16x16x32_fp8_fp8 v[12:15], a[72:73], a[16:17], 0// 000000003754: D3F3000C 1A022148
	v_mfma_f32_16x16x32_fp8_fp8 v[12:15], a[74:75], a[18:19], v[12:15]// 00000000375C: D3F3000C 1C32254A
	buffer_load_dword v41, v32, s[28:31], 0 offen              // 000000003764: E0501000 80072920
	v_mfma_f32_16x16x32_fp8_fp8 v[12:15], a[76:77], a[20:21], v[12:15]// 00000000376C: D3F3000C 1C32294C
	v_mfma_f32_16x16x32_fp8_fp8 v[12:15], a[78:79], a[22:23], v[12:15]// 000000003774: D3F3000C 1C322D4E
	v_fma_f32 v84, v8, v6, v84                                 // 00000000377C: D1CB0054 05520D08
	v_fma_f32 v85, v9, v6, v85                                 // 000000003784: D1CB0055 05560D09
	v_fma_f32 v86, v10, v6, v86                                // 00000000378C: D1CB0056 055A0D0A
	v_fma_f32 v87, v11, v6, v87                                // 000000003794: D1CB0057 055E0D0B
	v_fma_f32 v96, v12, v6, v96                                // 00000000379C: D1CB0060 05820D0C
	v_fma_f32 v97, v13, v6, v97                                // 0000000037A4: D1CB0061 05860D0D
	v_fma_f32 v98, v14, v6, v98                                // 0000000037AC: D1CB0062 058A0D0E
	v_fma_f32 v99, v15, v6, v99                                // 0000000037B4: D1CB0063 058E0D0F
	s_waitcnt vmcnt(18)                                        // 0000000037BC: BF8C4F72
	s_barrier                                                  // 0000000037C0: BF8A0000
	v_mul_f32_dpp v4, v27, v33 row_newbcast:0 row_mask:0xf bank_mask:0xf// 0000000037C4: 0A0842FA FF01501B
	v_mfma_f32_16x16x32_fp8_fp8 v[8:11], a[80:81], a[0:1], 0   // 0000000037CC: D3F30008 1A020150
	buffer_load_dword v28, v23, s[32:35], 0 offen              // 0000000037D4: E0501000 80081C17
	v_mfma_f32_16x16x32_fp8_fp8 v[8:11], a[82:83], a[2:3], v[8:11]// 0000000037DC: D3F30008 1C220552
	buffer_load_dwordx4 a[48:51], v48, s[84:87], 0 offen       // 0000000037E4: E05C1000 80953030
	v_mfma_f32_16x16x32_fp8_fp8 v[8:11], a[84:85], a[4:5], v[8:11]// 0000000037EC: D3F30008 1C220954
	v_mfma_f32_16x16x32_fp8_fp8 v[8:11], a[86:87], a[6:7], v[8:11]// 0000000037F4: D3F30008 1C220D56
	ds_read_b128 a[24:27], v2 offset:6272                      // 0000000037FC: DBFE1880 18000002
	ds_read_b128 a[28:31], v2 offset:6336                      // 000000003804: DBFE18C0 1C000002
	v_mfma_f32_16x16x32_fp8_fp8 v[12:15], a[88:89], a[0:1], 0  // 00000000380C: D3F3000C 1A020158
	v_mfma_f32_16x16x32_fp8_fp8 v[12:15], a[90:91], a[2:3], v[12:15]// 000000003814: D3F3000C 1C32055A
	buffer_load_dwordx4 a[52:55], v48, s[84:87], 0 offen offset:1024// 00000000381C: E05C1400 80953430
	v_mfma_f32_16x16x32_fp8_fp8 v[12:15], a[92:93], a[4:5], v[12:15]// 000000003824: D3F3000C 1C32095C
	v_mfma_f32_16x16x32_fp8_fp8 v[12:15], a[94:95], a[6:7], v[12:15]// 00000000382C: D3F3000C 1C320D5E
	ds_read_b128 a[32:35], v2 offset:6784                      // 000000003834: DBFE1A80 20000002
	ds_read_b128 a[36:39], v2 offset:6848                      // 00000000383C: DBFE1AC0 24000002
	v_fma_f32 v100, v8, v4, v100                               // 000000003844: D1CB0064 05920908
	v_fma_f32 v101, v9, v4, v101                               // 00000000384C: D1CB0065 05960909
	v_fma_f32 v102, v10, v4, v102                              // 000000003854: D1CB0066 059A090A
	v_fma_f32 v103, v11, v4, v103                              // 00000000385C: D1CB0067 059E090B
	v_mul_f32_dpp v6, v27, v33 row_newbcast:1 row_mask:0xf bank_mask:0xf// 000000003864: 0A0C42FA FF01511B
	v_mfma_f32_16x16x32_fp8_fp8 v[8:11], a[96:97], a[0:1], 0   // 00000000386C: D3F30008 1A020160
	v_mfma_f32_16x16x32_fp8_fp8 v[8:11], a[98:99], a[2:3], v[8:11]// 000000003874: D3F30008 1C220562
	buffer_load_dwordx4 a[56:59], v49, s[84:87], 0 offen       // 00000000387C: E05C1000 80953831
	v_mfma_f32_16x16x32_fp8_fp8 v[8:11], a[100:101], a[4:5], v[8:11]// 000000003884: D3F30008 1C220964
	v_mfma_f32_16x16x32_fp8_fp8 v[8:11], a[102:103], a[6:7], v[8:11]// 00000000388C: D3F30008 1C220D66
	ds_read_b128 a[40:43], v2 offset:7296                      // 000000003894: DBFE1C80 28000002
	ds_read_b128 a[44:47], v2 offset:7360                      // 00000000389C: DBFE1CC0 2C000002
	v_fma_f32 v112, v12, v4, v112                              // 0000000038A4: D1CB0070 05C2090C
	v_fma_f32 v113, v13, v4, v113                              // 0000000038AC: D1CB0071 05C6090D
	v_fma_f32 v114, v14, v4, v114                              // 0000000038B4: D1CB0072 05CA090E
	v_fma_f32 v115, v15, v4, v115                              // 0000000038BC: D1CB0073 05CE090F
	v_mfma_f32_16x16x32_fp8_fp8 v[12:15], a[104:105], a[0:1], 0// 0000000038C4: D3F3000C 1A020168
	v_mfma_f32_16x16x32_fp8_fp8 v[12:15], a[106:107], a[2:3], v[12:15]// 0000000038CC: D3F3000C 1C32056A
	buffer_load_dwordx4 a[60:63], v49, s[84:87], 0 offen offset:1024// 0000000038D4: E05C1400 80953C31
	v_mfma_f32_16x16x32_fp8_fp8 v[12:15], a[108:109], a[4:5], v[12:15]// 0000000038DC: D3F3000C 1C32096C
	v_mfma_f32_16x16x32_fp8_fp8 v[12:15], a[110:111], a[6:7], v[12:15]// 0000000038E4: D3F3000C 1C320D6E
	v_fma_f32 v124, v8, v6, v124                               // 0000000038EC: D1CB007C 05F20D08
	v_fma_f32 v125, v9, v6, v125                               // 0000000038F4: D1CB007D 05F60D09
	v_fma_f32 v126, v10, v6, v126                              // 0000000038FC: D1CB007E 05FA0D0A
	v_fma_f32 v127, v11, v6, v127                              // 000000003904: D1CB007F 05FE0D0B
	v_mul_f32_dpp v4, v27, v34 row_newbcast:0 row_mask:0xf bank_mask:0xf// 00000000390C: 0A0844FA FF01501B
	v_mfma_f32_16x16x32_fp8_fp8 v[8:11], a[80:81], a[8:9], 0   // 000000003914: D3F30008 1A021150
	v_mfma_f32_16x16x32_fp8_fp8 v[8:11], a[82:83], a[10:11], v[8:11]// 00000000391C: D3F30008 1C221552
	buffer_load_dwordx4 a[64:67], v50, s[84:87], 0 offen       // 000000003924: E05C1000 80954032
	v_mfma_f32_16x16x32_fp8_fp8 v[8:11], a[84:85], a[12:13], v[8:11]// 00000000392C: D3F30008 1C221954
	v_mfma_f32_16x16x32_fp8_fp8 v[8:11], a[86:87], a[14:15], v[8:11]// 000000003934: D3F30008 1C221D56
	v_fma_f32 v136, v12, v6, v136                              // 00000000393C: D1CB0088 06220D0C
	v_fma_f32 v137, v13, v6, v137                              // 000000003944: D1CB0089 06260D0D
	v_fma_f32 v138, v14, v6, v138                              // 00000000394C: D1CB008A 062A0D0E
	v_fma_f32 v139, v15, v6, v139                              // 000000003954: D1CB008B 062E0D0F
	v_mfma_f32_16x16x32_fp8_fp8 v[12:15], a[88:89], a[8:9], 0  // 00000000395C: D3F3000C 1A021158
	v_mfma_f32_16x16x32_fp8_fp8 v[12:15], a[90:91], a[10:11], v[12:15]// 000000003964: D3F3000C 1C32155A
	buffer_load_dwordx4 a[68:71], v50, s[84:87], 0 offen offset:1024// 00000000396C: E05C1400 80954432
	v_mfma_f32_16x16x32_fp8_fp8 v[12:15], a[92:93], a[12:13], v[12:15]// 000000003974: D3F3000C 1C32195C
	v_mfma_f32_16x16x32_fp8_fp8 v[12:15], a[94:95], a[14:15], v[12:15]// 00000000397C: D3F3000C 1C321D5E
	v_fma_f32 v104, v8, v4, v104                               // 000000003984: D1CB0068 05A20908
	v_fma_f32 v105, v9, v4, v105                               // 00000000398C: D1CB0069 05A60909
	v_fma_f32 v106, v10, v4, v106                              // 000000003994: D1CB006A 05AA090A
	v_fma_f32 v107, v11, v4, v107                              // 00000000399C: D1CB006B 05AE090B
	v_mul_f32_dpp v6, v27, v34 row_newbcast:1 row_mask:0xf bank_mask:0xf// 0000000039A4: 0A0C44FA FF01511B
	v_mfma_f32_16x16x32_fp8_fp8 v[8:11], a[96:97], a[8:9], 0   // 0000000039AC: D3F30008 1A021160
	v_mfma_f32_16x16x32_fp8_fp8 v[8:11], a[98:99], a[10:11], v[8:11]// 0000000039B4: D3F30008 1C221562
	buffer_load_dwordx4 a[72:75], v51, s[84:87], 0 offen       // 0000000039BC: E05C1000 80954833
	v_mfma_f32_16x16x32_fp8_fp8 v[8:11], a[100:101], a[12:13], v[8:11]// 0000000039C4: D3F30008 1C221964
	v_mfma_f32_16x16x32_fp8_fp8 v[8:11], a[102:103], a[14:15], v[8:11]// 0000000039CC: D3F30008 1C221D66
	v_fma_f32 v116, v12, v4, v116                              // 0000000039D4: D1CB0074 05D2090C
	v_fma_f32 v117, v13, v4, v117                              // 0000000039DC: D1CB0075 05D6090D
	v_fma_f32 v118, v14, v4, v118                              // 0000000039E4: D1CB0076 05DA090E
	v_fma_f32 v119, v15, v4, v119                              // 0000000039EC: D1CB0077 05DE090F
	v_mfma_f32_16x16x32_fp8_fp8 v[12:15], a[104:105], a[8:9], 0// 0000000039F4: D3F3000C 1A021168
	v_mfma_f32_16x16x32_fp8_fp8 v[12:15], a[106:107], a[10:11], v[12:15]// 0000000039FC: D3F3000C 1C32156A
	buffer_load_dwordx4 a[76:79], v51, s[84:87], 0 offen offset:1024// 000000003A04: E05C1400 80954C33
	v_mfma_f32_16x16x32_fp8_fp8 v[12:15], a[108:109], a[12:13], v[12:15]// 000000003A0C: D3F3000C 1C32196C
	v_mfma_f32_16x16x32_fp8_fp8 v[12:15], a[110:111], a[14:15], v[12:15]// 000000003A14: D3F3000C 1C321D6E
	v_fma_f32 v128, v8, v6, v128                               // 000000003A1C: D1CB0080 06020D08
	v_fma_f32 v129, v9, v6, v129                               // 000000003A24: D1CB0081 06060D09
	v_fma_f32 v130, v10, v6, v130                              // 000000003A2C: D1CB0082 060A0D0A
	v_fma_f32 v131, v11, v6, v131                              // 000000003A34: D1CB0083 060E0D0B
	v_mul_f32_dpp v4, v27, v35 row_newbcast:0 row_mask:0xf bank_mask:0xf// 000000003A3C: 0A0846FA FF01501B
	v_mfma_f32_16x16x32_fp8_fp8 v[8:11], a[80:81], a[16:17], 0 // 000000003A44: D3F30008 1A022150
	v_mfma_f32_16x16x32_fp8_fp8 v[8:11], a[82:83], a[18:19], v[8:11]// 000000003A4C: D3F30008 1C222552
	v_mfma_f32_16x16x32_fp8_fp8 v[8:11], a[84:85], a[20:21], v[8:11]// 000000003A54: D3F30008 1C222954
	v_mfma_f32_16x16x32_fp8_fp8 v[8:11], a[86:87], a[22:23], v[8:11]// 000000003A5C: D3F30008 1C222D56
	v_fma_f32 v140, v12, v6, v140                              // 000000003A64: D1CB008C 06320D0C
	v_fma_f32 v141, v13, v6, v141                              // 000000003A6C: D1CB008D 06360D0D
	v_fma_f32 v142, v14, v6, v142                              // 000000003A74: D1CB008E 063A0D0E
	v_fma_f32 v143, v15, v6, v143                              // 000000003A7C: D1CB008F 063E0D0F
	v_mfma_f32_16x16x32_fp8_fp8 v[12:15], a[88:89], a[16:17], 0// 000000003A84: D3F3000C 1A022158
	v_mfma_f32_16x16x32_fp8_fp8 v[12:15], a[90:91], a[18:19], v[12:15]// 000000003A8C: D3F3000C 1C32255A
	v_mfma_f32_16x16x32_fp8_fp8 v[12:15], a[92:93], a[20:21], v[12:15]// 000000003A94: D3F3000C 1C32295C
	v_mfma_f32_16x16x32_fp8_fp8 v[12:15], a[94:95], a[22:23], v[12:15]// 000000003A9C: D3F3000C 1C322D5E
	v_fma_f32 v108, v8, v4, v108                               // 000000003AA4: D1CB006C 05B20908
	v_fma_f32 v109, v9, v4, v109                               // 000000003AAC: D1CB006D 05B60909
	v_fma_f32 v110, v10, v4, v110                              // 000000003AB4: D1CB006E 05BA090A
	v_fma_f32 v111, v11, v4, v111                              // 000000003ABC: D1CB006F 05BE090B
	v_mul_f32_dpp v6, v27, v35 row_newbcast:1 row_mask:0xf bank_mask:0xf// 000000003AC4: 0A0C46FA FF01511B
	v_mfma_f32_16x16x32_fp8_fp8 v[8:11], a[96:97], a[16:17], 0 // 000000003ACC: D3F30008 1A022160
	s_add_u32 s60, 0x180, s80                                  // 000000003AD4: 803C50FF 00000180
	s_cmp_lt_u32 s60, s81                                      // 000000003ADC: BF0A513C
	s_cselect_b32 s57, s57, 0                                  // 000000003AE0: 85398039
	s_cselect_b32 s3, s3, 0                                    // 000000003AE4: 85038003
	v_mfma_f32_16x16x32_fp8_fp8 v[8:11], a[98:99], a[18:19], v[8:11]// 000000003AE8: D3F30008 1C222562
	s_add_u32 s60, 0x100, s80                                  // 000000003AF0: 803C50FF 00000100
	s_cmp_lt_u32 s60, s81                                      // 000000003AF8: BF0A513C
	s_cselect_b32 s58, s58, 0                                  // 000000003AFC: 853A803A
	v_mfma_f32_16x16x32_fp8_fp8 v[8:11], a[100:101], a[20:21], v[8:11]// 000000003B00: D3F30008 1C222964
	s_add_u32 s60, 0x100, s80                                  // 000000003B08: 803C50FF 00000100
	s_cmp_lt_u32 s60, s81                                      // 000000003B10: BF0A513C
	s_cselect_b32 s83, s83, 0                                  // 000000003B14: 85538053
	s_cselect_b32 s4, s4, 0                                    // 000000003B18: 85048004
	v_mfma_f32_16x16x32_fp8_fp8 v[8:11], a[102:103], a[22:23], v[8:11]// 000000003B1C: D3F30008 1C222D66
	s_add_u32 s24, s58, s24                                    // 000000003B24: 8018183A
	s_addc_u32 s25, 0, s25                                     // 000000003B28: 82191980
	v_fma_f32 v120, v12, v4, v120                              // 000000003B2C: D1CB0078 05E2090C
	v_fma_f32 v121, v13, v4, v121                              // 000000003B34: D1CB0079 05E6090D
	v_fma_f32 v122, v14, v4, v122                              // 000000003B3C: D1CB007A 05EA090E
	v_fma_f32 v123, v15, v4, v123                              // 000000003B44: D1CB007B 05EE090F
	v_mfma_f32_16x16x32_fp8_fp8 v[12:15], a[104:105], a[16:17], 0// 000000003B4C: D3F3000C 1A022168
	s_add_u32 s20, s57, s20                                    // 000000003B54: 80141439
	s_addc_u32 s21, 0, s21                                     // 000000003B58: 82151580
	s_add_u32 s28, s3, s28                                     // 000000003B5C: 801C1C03
	s_addc_u32 s29, 0, s29                                     // 000000003B60: 821D1D80
	v_mfma_f32_16x16x32_fp8_fp8 v[12:15], a[106:107], a[18:19], v[12:15]// 000000003B64: D3F3000C 1C32256A
	s_add_u32 s84, s83, s84                                    // 000000003B6C: 80545453
	s_addc_u32 s85, 0, s85                                     // 000000003B70: 82555580
	v_mfma_f32_16x16x32_fp8_fp8 v[12:15], a[108:109], a[20:21], v[12:15]// 000000003B74: D3F3000C 1C32296C
	s_add_u32 s32, s4, s32                                     // 000000003B7C: 80202004
	s_addc_u32 s33, 0, s33                                     // 000000003B80: 82212180
	v_mfma_f32_16x16x32_fp8_fp8 v[12:15], a[110:111], a[22:23], v[12:15]// 000000003B84: D3F3000C 1C322D6E
	v_fma_f32 v132, v8, v6, v132                               // 000000003B8C: D1CB0084 06120D08
	v_fma_f32 v133, v9, v6, v133                               // 000000003B94: D1CB0085 06160D09
	v_fma_f32 v134, v10, v6, v134                              // 000000003B9C: D1CB0086 061A0D0A
	v_fma_f32 v135, v11, v6, v135                              // 000000003BA4: D1CB0087 061E0D0B
	v_fma_f32 v144, v12, v6, v144                              // 000000003BAC: D1CB0090 06420D0C
	v_fma_f32 v145, v13, v6, v145                              // 000000003BB4: D1CB0091 06460D0D
	v_fma_f32 v146, v14, v6, v146                              // 000000003BBC: D1CB0092 064A0D0E
	v_fma_f32 v147, v15, v6, v147                              // 000000003BC4: D1CB0093 064E0D0F
	s_addk_i32 s80, 0x80                                       // 000000003BCC: B7500080
	s_cmp_lt_i32 s80, s81                                      // 000000003BD0: BF045150
	s_cbranch_scc0 label_0E86                                  // 000000003BD4: BF840A10
	s_waitcnt vmcnt(18) lgkmcnt(0)                             // 000000003BD8: BF8C4072
	v_mul_f32_dpp v4, v25, v36 row_newbcast:0 row_mask:0xf bank_mask:0xf// 000000003BDC: 0A0848FA FF015019
	v_mfma_f32_16x16x32_fp8_fp8 v[8:11], a[112:113], a[24:25], 0// 000000003BE4: D3F30008 1A023170
	buffer_load_dword v26, v22, s[32:35], 0 offen              // 000000003BEC: E0501000 80081A16
	v_mfma_f32_16x16x32_fp8_fp8 v[8:11], a[114:115], a[26:27], v[8:11]// 000000003BF4: D3F30008 1C223572
	buffer_load_dwordx4 a[80:83], v48, s[24:27], 0 offen       // 000000003BFC: E05C1000 80865030
	v_mfma_f32_16x16x32_fp8_fp8 v[8:11], a[116:117], a[28:29], v[8:11]// 000000003C04: D3F30008 1C223974
	v_mfma_f32_16x16x32_fp8_fp8 v[8:11], a[118:119], a[30:31], v[8:11]// 000000003C0C: D3F30008 1C223D76
	v_mfma_f32_16x16x32_fp8_fp8 v[12:15], a[120:121], a[24:25], 0// 000000003C14: D3F3000C 1A023178
	v_mfma_f32_16x16x32_fp8_fp8 v[12:15], a[122:123], a[26:27], v[12:15]// 000000003C1C: D3F3000C 1C32357A
	buffer_load_dwordx4 a[84:87], v48, s[24:27], 0 offen offset:1024// 000000003C24: E05C1400 80865430
	v_mfma_f32_16x16x32_fp8_fp8 v[12:15], a[124:125], a[28:29], v[12:15]// 000000003C2C: D3F3000C 1C32397C
	v_mfma_f32_16x16x32_fp8_fp8 v[12:15], a[126:127], a[30:31], v[12:15]// 000000003C34: D3F3000C 1C323D7E
	v_fma_f32 v52, v8, v4, v52                                 // 000000003C3C: D1CB0034 04D20908
	v_fma_f32 v53, v9, v4, v53                                 // 000000003C44: D1CB0035 04D60909
	v_fma_f32 v54, v10, v4, v54                                // 000000003C4C: D1CB0036 04DA090A
	v_fma_f32 v55, v11, v4, v55                                // 000000003C54: D1CB0037 04DE090B
	v_mul_f32_dpp v6, v25, v36 row_newbcast:1 row_mask:0xf bank_mask:0xf// 000000003C5C: 0A0C48FA FF015119
	v_mfma_f32_16x16x32_fp8_fp8 v[8:11], a[128:129], a[24:25], 0// 000000003C64: D3F30008 1A023180
	v_mfma_f32_16x16x32_fp8_fp8 v[8:11], a[130:131], a[26:27], v[8:11]// 000000003C6C: D3F30008 1C223582
	buffer_load_dwordx4 a[88:91], v49, s[24:27], 0 offen       // 000000003C74: E05C1000 80865831
	v_mfma_f32_16x16x32_fp8_fp8 v[8:11], a[132:133], a[28:29], v[8:11]// 000000003C7C: D3F30008 1C223984
	v_mfma_f32_16x16x32_fp8_fp8 v[8:11], a[134:135], a[30:31], v[8:11]// 000000003C84: D3F30008 1C223D86
	v_fma_f32 v64, v12, v4, v64                                // 000000003C8C: D1CB0040 0502090C
	v_fma_f32 v65, v13, v4, v65                                // 000000003C94: D1CB0041 0506090D
	v_fma_f32 v66, v14, v4, v66                                // 000000003C9C: D1CB0042 050A090E
	v_fma_f32 v67, v15, v4, v67                                // 000000003CA4: D1CB0043 050E090F
	v_mfma_f32_16x16x32_fp8_fp8 v[12:15], a[136:137], a[24:25], 0// 000000003CAC: D3F3000C 1A023188
	v_mfma_f32_16x16x32_fp8_fp8 v[12:15], a[138:139], a[26:27], v[12:15]// 000000003CB4: D3F3000C 1C32358A
	buffer_load_dwordx4 a[92:95], v49, s[24:27], 0 offen offset:1024// 000000003CBC: E05C1400 80865C31
	v_mfma_f32_16x16x32_fp8_fp8 v[12:15], a[140:141], a[28:29], v[12:15]// 000000003CC4: D3F3000C 1C32398C
	v_mfma_f32_16x16x32_fp8_fp8 v[12:15], a[142:143], a[30:31], v[12:15]// 000000003CCC: D3F3000C 1C323D8E
	v_fma_f32 v76, v8, v6, v76                                 // 000000003CD4: D1CB004C 05320D08
	v_fma_f32 v77, v9, v6, v77                                 // 000000003CDC: D1CB004D 05360D09
	v_fma_f32 v78, v10, v6, v78                                // 000000003CE4: D1CB004E 053A0D0A
	v_fma_f32 v79, v11, v6, v79                                // 000000003CEC: D1CB004F 053E0D0B
	v_mul_f32_dpp v4, v25, v37 row_newbcast:0 row_mask:0xf bank_mask:0xf// 000000003CF4: 0A084AFA FF015019
	v_mfma_f32_16x16x32_fp8_fp8 v[8:11], a[112:113], a[32:33], 0// 000000003CFC: D3F30008 1A024170
	v_mfma_f32_16x16x32_fp8_fp8 v[8:11], a[114:115], a[34:35], v[8:11]// 000000003D04: D3F30008 1C224572
	buffer_load_dwordx4 a[96:99], v50, s[24:27], 0 offen       // 000000003D0C: E05C1000 80866032
	v_mfma_f32_16x16x32_fp8_fp8 v[8:11], a[116:117], a[36:37], v[8:11]// 000000003D14: D3F30008 1C224974
	v_mfma_f32_16x16x32_fp8_fp8 v[8:11], a[118:119], a[38:39], v[8:11]// 000000003D1C: D3F30008 1C224D76
	v_fma_f32 v88, v12, v6, v88                                // 000000003D24: D1CB0058 05620D0C
	v_fma_f32 v89, v13, v6, v89                                // 000000003D2C: D1CB0059 05660D0D
	v_fma_f32 v90, v14, v6, v90                                // 000000003D34: D1CB005A 056A0D0E
	v_fma_f32 v91, v15, v6, v91                                // 000000003D3C: D1CB005B 056E0D0F
	v_mfma_f32_16x16x32_fp8_fp8 v[12:15], a[120:121], a[32:33], 0// 000000003D44: D3F3000C 1A024178
	v_mfma_f32_16x16x32_fp8_fp8 v[12:15], a[122:123], a[34:35], v[12:15]// 000000003D4C: D3F3000C 1C32457A
	buffer_load_dwordx4 a[100:103], v50, s[24:27], 0 offen offset:1024// 000000003D54: E05C1400 80866432
	v_mfma_f32_16x16x32_fp8_fp8 v[12:15], a[124:125], a[36:37], v[12:15]// 000000003D5C: D3F3000C 1C32497C
	v_mfma_f32_16x16x32_fp8_fp8 v[12:15], a[126:127], a[38:39], v[12:15]// 000000003D64: D3F3000C 1C324D7E
	v_fma_f32 v56, v8, v4, v56                                 // 000000003D6C: D1CB0038 04E20908
	v_fma_f32 v57, v9, v4, v57                                 // 000000003D74: D1CB0039 04E60909
	v_fma_f32 v58, v10, v4, v58                                // 000000003D7C: D1CB003A 04EA090A
	v_fma_f32 v59, v11, v4, v59                                // 000000003D84: D1CB003B 04EE090B
	v_mul_f32_dpp v6, v25, v37 row_newbcast:1 row_mask:0xf bank_mask:0xf// 000000003D8C: 0A0C4AFA FF015119
	v_mfma_f32_16x16x32_fp8_fp8 v[8:11], a[128:129], a[32:33], 0// 000000003D94: D3F30008 1A024180
	v_mfma_f32_16x16x32_fp8_fp8 v[8:11], a[130:131], a[34:35], v[8:11]// 000000003D9C: D3F30008 1C224582
	buffer_load_dwordx4 a[104:107], v51, s[24:27], 0 offen     // 000000003DA4: E05C1000 80866833
	v_mfma_f32_16x16x32_fp8_fp8 v[8:11], a[132:133], a[36:37], v[8:11]// 000000003DAC: D3F30008 1C224984
	v_mfma_f32_16x16x32_fp8_fp8 v[8:11], a[134:135], a[38:39], v[8:11]// 000000003DB4: D3F30008 1C224D86
	v_fma_f32 v68, v12, v4, v68                                // 000000003DBC: D1CB0044 0512090C
	v_fma_f32 v69, v13, v4, v69                                // 000000003DC4: D1CB0045 0516090D
	v_fma_f32 v70, v14, v4, v70                                // 000000003DCC: D1CB0046 051A090E
	v_fma_f32 v71, v15, v4, v71                                // 000000003DD4: D1CB0047 051E090F
	v_mfma_f32_16x16x32_fp8_fp8 v[12:15], a[136:137], a[32:33], 0// 000000003DDC: D3F3000C 1A024188
	v_mfma_f32_16x16x32_fp8_fp8 v[12:15], a[138:139], a[34:35], v[12:15]// 000000003DE4: D3F3000C 1C32458A
	buffer_load_dwordx4 a[108:111], v51, s[24:27], 0 offen offset:1024// 000000003DEC: E05C1400 80866C33
	buffer_load_dword v42, s[20:23], 0 offen lds               // 000000003DF4: E0511000 8005002A
	s_add_u32 m0, 0x100, s48                                   // 000000003DFC: 807C30FF 00000100
	v_mfma_f32_16x16x32_fp8_fp8 v[12:15], a[140:141], a[36:37], v[12:15]// 000000003E04: D3F3000C 1C32498C
	v_mfma_f32_16x16x32_fp8_fp8 v[12:15], a[142:143], a[38:39], v[12:15]// 000000003E0C: D3F3000C 1C324D8E
	buffer_load_dword v43, s[20:23], 0 offen lds               // 000000003E14: E0511000 8005002B
	s_add_u32 m0, 0x200, s48                                   // 000000003E1C: 807C30FF 00000200
	v_fma_f32 v80, v8, v6, v80                                 // 000000003E24: D1CB0050 05420D08
	v_fma_f32 v81, v9, v6, v81                                 // 000000003E2C: D1CB0051 05460D09
	v_fma_f32 v82, v10, v6, v82                                // 000000003E34: D1CB0052 054A0D0A
	v_fma_f32 v83, v11, v6, v83                                // 000000003E3C: D1CB0053 054E0D0B
	v_mul_f32_dpp v4, v25, v38 row_newbcast:0 row_mask:0xf bank_mask:0xf// 000000003E44: 0A084CFA FF015019
	v_mfma_f32_16x16x32_fp8_fp8 v[8:11], a[112:113], a[40:41], 0// 000000003E4C: D3F30008 1A025170
	v_mfma_f32_16x16x32_fp8_fp8 v[8:11], a[114:115], a[42:43], v[8:11]// 000000003E54: D3F30008 1C225572
	buffer_load_dword v44, s[20:23], 0 offen lds               // 000000003E5C: E0511000 8005002C
	s_add_u32 m0, 0x300, s48                                   // 000000003E64: 807C30FF 00000300
	v_mfma_f32_16x16x32_fp8_fp8 v[8:11], a[116:117], a[44:45], v[8:11]// 000000003E6C: D3F30008 1C225974
	v_mfma_f32_16x16x32_fp8_fp8 v[8:11], a[118:119], a[46:47], v[8:11]// 000000003E74: D3F30008 1C225D76
	buffer_load_dword v45, s[20:23], 0 offen lds               // 000000003E7C: E0511000 8005002D
	s_add_u32 m0, 0x400, s48                                   // 000000003E84: 807C30FF 00000400
	v_fma_f32 v92, v12, v6, v92                                // 000000003E8C: D1CB005C 05720D0C
	v_fma_f32 v93, v13, v6, v93                                // 000000003E94: D1CB005D 05760D0D
	v_fma_f32 v94, v14, v6, v94                                // 000000003E9C: D1CB005E 057A0D0E
	v_fma_f32 v95, v15, v6, v95                                // 000000003EA4: D1CB005F 057E0D0F
	v_mfma_f32_16x16x32_fp8_fp8 v[12:15], a[120:121], a[40:41], 0// 000000003EAC: D3F3000C 1A025178
	v_mfma_f32_16x16x32_fp8_fp8 v[12:15], a[122:123], a[42:43], v[12:15]// 000000003EB4: D3F3000C 1C32557A
	buffer_load_dword v46, s[20:23], 0 offen lds               // 000000003EBC: E0511000 8005002E
	s_add_u32 m0, 0x500, s48                                   // 000000003EC4: 807C30FF 00000500
	v_mfma_f32_16x16x32_fp8_fp8 v[12:15], a[124:125], a[44:45], v[12:15]// 000000003ECC: D3F3000C 1C32597C
	v_mfma_f32_16x16x32_fp8_fp8 v[12:15], a[126:127], a[46:47], v[12:15]// 000000003ED4: D3F3000C 1C325D7E
	buffer_load_dword v47, s[20:23], 0 offen lds               // 000000003EDC: E0511000 8005002F
	s_add_u32 m0, 0, s49                                       // 000000003EE4: 807C3180
	v_fma_f32 v60, v8, v4, v60                                 // 000000003EE8: D1CB003C 04F20908
	v_fma_f32 v61, v9, v4, v61                                 // 000000003EF0: D1CB003D 04F60909
	v_fma_f32 v62, v10, v4, v62                                // 000000003EF8: D1CB003E 04FA090A
	v_fma_f32 v63, v11, v4, v63                                // 000000003F00: D1CB003F 04FE090B
	v_mul_f32_dpp v6, v25, v38 row_newbcast:1 row_mask:0xf bank_mask:0xf// 000000003F08: 0A0C4CFA FF015119
	v_mfma_f32_16x16x32_fp8_fp8 v[8:11], a[128:129], a[40:41], 0// 000000003F10: D3F30008 1A025180
	v_mfma_f32_16x16x32_fp8_fp8 v[8:11], a[130:131], a[42:43], v[8:11]// 000000003F18: D3F30008 1C225582
	buffer_load_dword v33, v30, s[28:31], 0 offen              // 000000003F20: E0501000 8007211E
	v_mfma_f32_16x16x32_fp8_fp8 v[8:11], a[132:133], a[44:45], v[8:11]// 000000003F28: D3F30008 1C225984
	v_mfma_f32_16x16x32_fp8_fp8 v[8:11], a[134:135], a[46:47], v[8:11]// 000000003F30: D3F30008 1C225D86
	buffer_load_dword v34, v31, s[28:31], 0 offen              // 000000003F38: E0501000 8007221F
	v_fma_f32 v72, v12, v4, v72                                // 000000003F40: D1CB0048 0522090C
	v_fma_f32 v73, v13, v4, v73                                // 000000003F48: D1CB0049 0526090D
	v_fma_f32 v74, v14, v4, v74                                // 000000003F50: D1CB004A 052A090E
	v_fma_f32 v75, v15, v4, v75                                // 000000003F58: D1CB004B 052E090F
	v_mfma_f32_16x16x32_fp8_fp8 v[12:15], a[136:137], a[40:41], 0// 000000003F60: D3F3000C 1A025188
	v_mfma_f32_16x16x32_fp8_fp8 v[12:15], a[138:139], a[42:43], v[12:15]// 000000003F68: D3F3000C 1C32558A
	buffer_load_dword v35, v32, s[28:31], 0 offen              // 000000003F70: E0501000 80072320
	v_mfma_f32_16x16x32_fp8_fp8 v[12:15], a[140:141], a[44:45], v[12:15]// 000000003F78: D3F3000C 1C32598C
	v_mfma_f32_16x16x32_fp8_fp8 v[12:15], a[142:143], a[46:47], v[12:15]// 000000003F80: D3F3000C 1C325D8E
	v_fma_f32 v84, v8, v6, v84                                 // 000000003F88: D1CB0054 05520D08
	v_fma_f32 v85, v9, v6, v85                                 // 000000003F90: D1CB0055 05560D09
	v_fma_f32 v86, v10, v6, v86                                // 000000003F98: D1CB0056 055A0D0A
	v_fma_f32 v87, v11, v6, v87                                // 000000003FA0: D1CB0057 055E0D0B
	v_fma_f32 v96, v12, v6, v96                                // 000000003FA8: D1CB0060 05820D0C
	v_fma_f32 v97, v13, v6, v97                                // 000000003FB0: D1CB0061 05860D0D
	v_fma_f32 v98, v14, v6, v98                                // 000000003FB8: D1CB0062 058A0D0E
	v_fma_f32 v99, v15, v6, v99                                // 000000003FC0: D1CB0063 058E0D0F
	s_waitcnt vmcnt(18)                                        // 000000003FC8: BF8C4F72
	s_barrier                                                  // 000000003FCC: BF8A0000
	v_mul_f32_dpp v4, v28, v36 row_newbcast:0 row_mask:0xf bank_mask:0xf// 000000003FD0: 0A0848FA FF01501C
	v_mfma_f32_16x16x32_fp8_fp8 v[8:11], a[48:49], a[24:25], 0 // 000000003FD8: D3F30008 1A023130
	buffer_load_dword v29, v23, s[32:35], 0 offen              // 000000003FE0: E0501000 80081D17
	v_mfma_f32_16x16x32_fp8_fp8 v[8:11], a[50:51], a[26:27], v[8:11]// 000000003FE8: D3F30008 1C223532
	buffer_load_dwordx4 a[112:115], v48, s[84:87], 0 offen     // 000000003FF0: E05C1000 80957030
	v_mfma_f32_16x16x32_fp8_fp8 v[8:11], a[52:53], a[28:29], v[8:11]// 000000003FF8: D3F30008 1C223934
	v_mfma_f32_16x16x32_fp8_fp8 v[8:11], a[54:55], a[30:31], v[8:11]// 000000004000: D3F30008 1C223D36
	ds_read_b128 a[0:3], v2 offset:12544                       // 000000004008: DBFE3100 00000002
	ds_read_b128 a[4:7], v2 offset:12608                       // 000000004010: DBFE3140 04000002
	v_mfma_f32_16x16x32_fp8_fp8 v[12:15], a[56:57], a[24:25], 0// 000000004018: D3F3000C 1A023138
	v_mfma_f32_16x16x32_fp8_fp8 v[12:15], a[58:59], a[26:27], v[12:15]// 000000004020: D3F3000C 1C32353A
	buffer_load_dwordx4 a[116:119], v48, s[84:87], 0 offen offset:1024// 000000004028: E05C1400 80957430
	v_mfma_f32_16x16x32_fp8_fp8 v[12:15], a[60:61], a[28:29], v[12:15]// 000000004030: D3F3000C 1C32393C
	v_mfma_f32_16x16x32_fp8_fp8 v[12:15], a[62:63], a[30:31], v[12:15]// 000000004038: D3F3000C 1C323D3E
	ds_read_b128 a[8:11], v2 offset:13056                      // 000000004040: DBFE3300 08000002
	ds_read_b128 a[12:15], v2 offset:13120                     // 000000004048: DBFE3340 0C000002
	v_fma_f32 v100, v8, v4, v100                               // 000000004050: D1CB0064 05920908
	v_fma_f32 v101, v9, v4, v101                               // 000000004058: D1CB0065 05960909
	v_fma_f32 v102, v10, v4, v102                              // 000000004060: D1CB0066 059A090A
	v_fma_f32 v103, v11, v4, v103                              // 000000004068: D1CB0067 059E090B
	v_mul_f32_dpp v6, v28, v36 row_newbcast:1 row_mask:0xf bank_mask:0xf// 000000004070: 0A0C48FA FF01511C
	v_mfma_f32_16x16x32_fp8_fp8 v[8:11], a[64:65], a[24:25], 0 // 000000004078: D3F30008 1A023140
	v_mfma_f32_16x16x32_fp8_fp8 v[8:11], a[66:67], a[26:27], v[8:11]// 000000004080: D3F30008 1C223542
	buffer_load_dwordx4 a[120:123], v49, s[84:87], 0 offen     // 000000004088: E05C1000 80957831
	v_mfma_f32_16x16x32_fp8_fp8 v[8:11], a[68:69], a[28:29], v[8:11]// 000000004090: D3F30008 1C223944
	v_mfma_f32_16x16x32_fp8_fp8 v[8:11], a[70:71], a[30:31], v[8:11]// 000000004098: D3F30008 1C223D46
	ds_read_b128 a[16:19], v2 offset:13568                     // 0000000040A0: DBFE3500 10000002
	ds_read_b128 a[20:23], v2 offset:13632                     // 0000000040A8: DBFE3540 14000002
	v_fma_f32 v112, v12, v4, v112                              // 0000000040B0: D1CB0070 05C2090C
	v_fma_f32 v113, v13, v4, v113                              // 0000000040B8: D1CB0071 05C6090D
	v_fma_f32 v114, v14, v4, v114                              // 0000000040C0: D1CB0072 05CA090E
	v_fma_f32 v115, v15, v4, v115                              // 0000000040C8: D1CB0073 05CE090F
	v_mfma_f32_16x16x32_fp8_fp8 v[12:15], a[72:73], a[24:25], 0// 0000000040D0: D3F3000C 1A023148
	v_mfma_f32_16x16x32_fp8_fp8 v[12:15], a[74:75], a[26:27], v[12:15]// 0000000040D8: D3F3000C 1C32354A
	buffer_load_dwordx4 a[124:127], v49, s[84:87], 0 offen offset:1024// 0000000040E0: E05C1400 80957C31
	v_mfma_f32_16x16x32_fp8_fp8 v[12:15], a[76:77], a[28:29], v[12:15]// 0000000040E8: D3F3000C 1C32394C
	v_mfma_f32_16x16x32_fp8_fp8 v[12:15], a[78:79], a[30:31], v[12:15]// 0000000040F0: D3F3000C 1C323D4E
	v_fma_f32 v124, v8, v6, v124                               // 0000000040F8: D1CB007C 05F20D08
	v_fma_f32 v125, v9, v6, v125                               // 000000004100: D1CB007D 05F60D09
	v_fma_f32 v126, v10, v6, v126                              // 000000004108: D1CB007E 05FA0D0A
	v_fma_f32 v127, v11, v6, v127                              // 000000004110: D1CB007F 05FE0D0B
	v_mul_f32_dpp v4, v28, v37 row_newbcast:0 row_mask:0xf bank_mask:0xf// 000000004118: 0A084AFA FF01501C
	v_mfma_f32_16x16x32_fp8_fp8 v[8:11], a[48:49], a[32:33], 0 // 000000004120: D3F30008 1A024130
	v_mfma_f32_16x16x32_fp8_fp8 v[8:11], a[50:51], a[34:35], v[8:11]// 000000004128: D3F30008 1C224532
	buffer_load_dwordx4 a[128:131], v50, s[84:87], 0 offen     // 000000004130: E05C1000 80958032
	v_mfma_f32_16x16x32_fp8_fp8 v[8:11], a[52:53], a[36:37], v[8:11]// 000000004138: D3F30008 1C224934
	v_mfma_f32_16x16x32_fp8_fp8 v[8:11], a[54:55], a[38:39], v[8:11]// 000000004140: D3F30008 1C224D36
	v_fma_f32 v136, v12, v6, v136                              // 000000004148: D1CB0088 06220D0C
	v_fma_f32 v137, v13, v6, v137                              // 000000004150: D1CB0089 06260D0D
	v_fma_f32 v138, v14, v6, v138                              // 000000004158: D1CB008A 062A0D0E
	v_fma_f32 v139, v15, v6, v139                              // 000000004160: D1CB008B 062E0D0F
	v_mfma_f32_16x16x32_fp8_fp8 v[12:15], a[56:57], a[32:33], 0// 000000004168: D3F3000C 1A024138
	v_mfma_f32_16x16x32_fp8_fp8 v[12:15], a[58:59], a[34:35], v[12:15]// 000000004170: D3F3000C 1C32453A
	buffer_load_dwordx4 a[132:135], v50, s[84:87], 0 offen offset:1024// 000000004178: E05C1400 80958432
	v_mfma_f32_16x16x32_fp8_fp8 v[12:15], a[60:61], a[36:37], v[12:15]// 000000004180: D3F3000C 1C32493C
	v_mfma_f32_16x16x32_fp8_fp8 v[12:15], a[62:63], a[38:39], v[12:15]// 000000004188: D3F3000C 1C324D3E
	v_fma_f32 v104, v8, v4, v104                               // 000000004190: D1CB0068 05A20908
	v_fma_f32 v105, v9, v4, v105                               // 000000004198: D1CB0069 05A60909
	v_fma_f32 v106, v10, v4, v106                              // 0000000041A0: D1CB006A 05AA090A
	v_fma_f32 v107, v11, v4, v107                              // 0000000041A8: D1CB006B 05AE090B
	v_mul_f32_dpp v6, v28, v37 row_newbcast:1 row_mask:0xf bank_mask:0xf// 0000000041B0: 0A0C4AFA FF01511C
	v_mfma_f32_16x16x32_fp8_fp8 v[8:11], a[64:65], a[32:33], 0 // 0000000041B8: D3F30008 1A024140
	v_mfma_f32_16x16x32_fp8_fp8 v[8:11], a[66:67], a[34:35], v[8:11]// 0000000041C0: D3F30008 1C224542
	buffer_load_dwordx4 a[136:139], v51, s[84:87], 0 offen     // 0000000041C8: E05C1000 80958833
	v_mfma_f32_16x16x32_fp8_fp8 v[8:11], a[68:69], a[36:37], v[8:11]// 0000000041D0: D3F30008 1C224944
	v_mfma_f32_16x16x32_fp8_fp8 v[8:11], a[70:71], a[38:39], v[8:11]// 0000000041D8: D3F30008 1C224D46
	v_fma_f32 v116, v12, v4, v116                              // 0000000041E0: D1CB0074 05D2090C
	v_fma_f32 v117, v13, v4, v117                              // 0000000041E8: D1CB0075 05D6090D
	v_fma_f32 v118, v14, v4, v118                              // 0000000041F0: D1CB0076 05DA090E
	v_fma_f32 v119, v15, v4, v119                              // 0000000041F8: D1CB0077 05DE090F
	v_mfma_f32_16x16x32_fp8_fp8 v[12:15], a[72:73], a[32:33], 0// 000000004200: D3F3000C 1A024148
	v_mfma_f32_16x16x32_fp8_fp8 v[12:15], a[74:75], a[34:35], v[12:15]// 000000004208: D3F3000C 1C32454A
	buffer_load_dwordx4 a[140:143], v51, s[84:87], 0 offen offset:1024// 000000004210: E05C1400 80958C33
	v_mfma_f32_16x16x32_fp8_fp8 v[12:15], a[76:77], a[36:37], v[12:15]// 000000004218: D3F3000C 1C32494C
	v_mfma_f32_16x16x32_fp8_fp8 v[12:15], a[78:79], a[38:39], v[12:15]// 000000004220: D3F3000C 1C324D4E
	v_fma_f32 v128, v8, v6, v128                               // 000000004228: D1CB0080 06020D08
	v_fma_f32 v129, v9, v6, v129                               // 000000004230: D1CB0081 06060D09
	v_fma_f32 v130, v10, v6, v130                              // 000000004238: D1CB0082 060A0D0A
	v_fma_f32 v131, v11, v6, v131                              // 000000004240: D1CB0083 060E0D0B
	v_mul_f32_dpp v4, v28, v38 row_newbcast:0 row_mask:0xf bank_mask:0xf// 000000004248: 0A084CFA FF01501C
	v_mfma_f32_16x16x32_fp8_fp8 v[8:11], a[48:49], a[40:41], 0 // 000000004250: D3F30008 1A025130
	v_mfma_f32_16x16x32_fp8_fp8 v[8:11], a[50:51], a[42:43], v[8:11]// 000000004258: D3F30008 1C225532
	v_mfma_f32_16x16x32_fp8_fp8 v[8:11], a[52:53], a[44:45], v[8:11]// 000000004260: D3F30008 1C225934
	v_mfma_f32_16x16x32_fp8_fp8 v[8:11], a[54:55], a[46:47], v[8:11]// 000000004268: D3F30008 1C225D36
	v_fma_f32 v140, v12, v6, v140                              // 000000004270: D1CB008C 06320D0C
	v_fma_f32 v141, v13, v6, v141                              // 000000004278: D1CB008D 06360D0D
	v_fma_f32 v142, v14, v6, v142                              // 000000004280: D1CB008E 063A0D0E
	v_fma_f32 v143, v15, v6, v143                              // 000000004288: D1CB008F 063E0D0F
	v_mfma_f32_16x16x32_fp8_fp8 v[12:15], a[56:57], a[40:41], 0// 000000004290: D3F3000C 1A025138
	v_mfma_f32_16x16x32_fp8_fp8 v[12:15], a[58:59], a[42:43], v[12:15]// 000000004298: D3F3000C 1C32553A
	v_mfma_f32_16x16x32_fp8_fp8 v[12:15], a[60:61], a[44:45], v[12:15]// 0000000042A0: D3F3000C 1C32593C
	v_mfma_f32_16x16x32_fp8_fp8 v[12:15], a[62:63], a[46:47], v[12:15]// 0000000042A8: D3F3000C 1C325D3E
	v_fma_f32 v108, v8, v4, v108                               // 0000000042B0: D1CB006C 05B20908
	v_fma_f32 v109, v9, v4, v109                               // 0000000042B8: D1CB006D 05B60909
	v_fma_f32 v110, v10, v4, v110                              // 0000000042C0: D1CB006E 05BA090A
	v_fma_f32 v111, v11, v4, v111                              // 0000000042C8: D1CB006F 05BE090B
	v_mul_f32_dpp v6, v28, v38 row_newbcast:1 row_mask:0xf bank_mask:0xf// 0000000042D0: 0A0C4CFA FF01511C
	v_mfma_f32_16x16x32_fp8_fp8 v[8:11], a[64:65], a[40:41], 0 // 0000000042D8: D3F30008 1A025140
	s_add_u32 s60, 0x180, s80                                  // 0000000042E0: 803C50FF 00000180
	s_cmp_lt_u32 s60, s81                                      // 0000000042E8: BF0A513C
	s_cselect_b32 s57, s57, 0                                  // 0000000042EC: 85398039
	s_cselect_b32 s3, s3, 0                                    // 0000000042F0: 85038003
	v_mfma_f32_16x16x32_fp8_fp8 v[8:11], a[66:67], a[42:43], v[8:11]// 0000000042F4: D3F30008 1C225542
	s_add_u32 s60, 0x100, s80                                  // 0000000042FC: 803C50FF 00000100
	s_cmp_lt_u32 s60, s81                                      // 000000004304: BF0A513C
	s_cselect_b32 s58, s58, 0                                  // 000000004308: 853A803A
	v_mfma_f32_16x16x32_fp8_fp8 v[8:11], a[68:69], a[44:45], v[8:11]// 00000000430C: D3F30008 1C225944
	s_add_u32 s60, 0x100, s80                                  // 000000004314: 803C50FF 00000100
	s_cmp_lt_u32 s60, s81                                      // 00000000431C: BF0A513C
	s_cselect_b32 s83, s83, 0                                  // 000000004320: 85538053
	s_cselect_b32 s4, s4, 0                                    // 000000004324: 85048004
	v_mfma_f32_16x16x32_fp8_fp8 v[8:11], a[70:71], a[46:47], v[8:11]// 000000004328: D3F30008 1C225D46
	s_add_u32 s24, s58, s24                                    // 000000004330: 8018183A
	s_addc_u32 s25, 0, s25                                     // 000000004334: 82191980
	v_fma_f32 v120, v12, v4, v120                              // 000000004338: D1CB0078 05E2090C
	v_fma_f32 v121, v13, v4, v121                              // 000000004340: D1CB0079 05E6090D
	v_fma_f32 v122, v14, v4, v122                              // 000000004348: D1CB007A 05EA090E
	v_fma_f32 v123, v15, v4, v123                              // 000000004350: D1CB007B 05EE090F
	v_mfma_f32_16x16x32_fp8_fp8 v[12:15], a[72:73], a[40:41], 0// 000000004358: D3F3000C 1A025148
	s_add_u32 s20, s57, s20                                    // 000000004360: 80141439
	s_addc_u32 s21, 0, s21                                     // 000000004364: 82151580
	s_add_u32 s28, s3, s28                                     // 000000004368: 801C1C03
	s_addc_u32 s29, 0, s29                                     // 00000000436C: 821D1D80
	v_mfma_f32_16x16x32_fp8_fp8 v[12:15], a[74:75], a[42:43], v[12:15]// 000000004370: D3F3000C 1C32554A
	s_add_u32 s84, s83, s84                                    // 000000004378: 80545453
	s_addc_u32 s85, 0, s85                                     // 00000000437C: 82555580
	v_mfma_f32_16x16x32_fp8_fp8 v[12:15], a[76:77], a[44:45], v[12:15]// 000000004380: D3F3000C 1C32594C
	s_add_u32 s32, s4, s32                                     // 000000004388: 80202004
	s_addc_u32 s33, 0, s33                                     // 00000000438C: 82212180
	v_mfma_f32_16x16x32_fp8_fp8 v[12:15], a[78:79], a[46:47], v[12:15]// 000000004390: D3F3000C 1C325D4E
	v_fma_f32 v132, v8, v6, v132                               // 000000004398: D1CB0084 06120D08
	v_fma_f32 v133, v9, v6, v133                               // 0000000043A0: D1CB0085 06160D09
	v_fma_f32 v134, v10, v6, v134                              // 0000000043A8: D1CB0086 061A0D0A
	v_fma_f32 v135, v11, v6, v135                              // 0000000043B0: D1CB0087 061E0D0B
	v_fma_f32 v144, v12, v6, v144                              // 0000000043B8: D1CB0090 06420D0C
	v_fma_f32 v145, v13, v6, v145                              // 0000000043C0: D1CB0091 06460D0D
	v_fma_f32 v146, v14, v6, v146                              // 0000000043C8: D1CB0092 064A0D0E
	v_fma_f32 v147, v15, v6, v147                              // 0000000043D0: D1CB0093 064E0D0F
	s_addk_i32 s80, 0x80                                       // 0000000043D8: B7500080
	s_cmp_lt_i32 s80, s81                                      // 0000000043DC: BF045150
	s_cbranch_scc0 label_0E86                                  // 0000000043E0: BF84080D
	s_waitcnt vmcnt(18) lgkmcnt(0)                             // 0000000043E4: BF8C4072
	v_mul_f32_dpp v4, v26, v39 row_newbcast:0 row_mask:0xf bank_mask:0xf// 0000000043E8: 0A084EFA FF01501A
	v_mfma_f32_16x16x32_fp8_fp8 v[8:11], a[80:81], a[0:1], 0   // 0000000043F0: D3F30008 1A020150
	buffer_load_dword v24, v22, s[32:35], 0 offen              // 0000000043F8: E0501000 80081816
	v_mfma_f32_16x16x32_fp8_fp8 v[8:11], a[82:83], a[2:3], v[8:11]// 000000004400: D3F30008 1C220552
	buffer_load_dwordx4 a[48:51], v48, s[24:27], 0 offen       // 000000004408: E05C1000 80863030
	v_mfma_f32_16x16x32_fp8_fp8 v[8:11], a[84:85], a[4:5], v[8:11]// 000000004410: D3F30008 1C220954
	v_mfma_f32_16x16x32_fp8_fp8 v[8:11], a[86:87], a[6:7], v[8:11]// 000000004418: D3F30008 1C220D56
	v_mfma_f32_16x16x32_fp8_fp8 v[12:15], a[88:89], a[0:1], 0  // 000000004420: D3F3000C 1A020158
	v_mfma_f32_16x16x32_fp8_fp8 v[12:15], a[90:91], a[2:3], v[12:15]// 000000004428: D3F3000C 1C32055A
	buffer_load_dwordx4 a[52:55], v48, s[24:27], 0 offen offset:1024// 000000004430: E05C1400 80863430
	v_mfma_f32_16x16x32_fp8_fp8 v[12:15], a[92:93], a[4:5], v[12:15]// 000000004438: D3F3000C 1C32095C
	v_mfma_f32_16x16x32_fp8_fp8 v[12:15], a[94:95], a[6:7], v[12:15]// 000000004440: D3F3000C 1C320D5E
	v_fma_f32 v52, v8, v4, v52                                 // 000000004448: D1CB0034 04D20908
	v_fma_f32 v53, v9, v4, v53                                 // 000000004450: D1CB0035 04D60909
	v_fma_f32 v54, v10, v4, v54                                // 000000004458: D1CB0036 04DA090A
	v_fma_f32 v55, v11, v4, v55                                // 000000004460: D1CB0037 04DE090B
	v_mul_f32_dpp v6, v26, v39 row_newbcast:1 row_mask:0xf bank_mask:0xf// 000000004468: 0A0C4EFA FF01511A
	v_mfma_f32_16x16x32_fp8_fp8 v[8:11], a[96:97], a[0:1], 0   // 000000004470: D3F30008 1A020160
	v_mfma_f32_16x16x32_fp8_fp8 v[8:11], a[98:99], a[2:3], v[8:11]// 000000004478: D3F30008 1C220562
	buffer_load_dwordx4 a[56:59], v49, s[24:27], 0 offen       // 000000004480: E05C1000 80863831
	v_mfma_f32_16x16x32_fp8_fp8 v[8:11], a[100:101], a[4:5], v[8:11]// 000000004488: D3F30008 1C220964
	v_mfma_f32_16x16x32_fp8_fp8 v[8:11], a[102:103], a[6:7], v[8:11]// 000000004490: D3F30008 1C220D66
	v_fma_f32 v64, v12, v4, v64                                // 000000004498: D1CB0040 0502090C
	v_fma_f32 v65, v13, v4, v65                                // 0000000044A0: D1CB0041 0506090D
	v_fma_f32 v66, v14, v4, v66                                // 0000000044A8: D1CB0042 050A090E
	v_fma_f32 v67, v15, v4, v67                                // 0000000044B0: D1CB0043 050E090F
	v_mfma_f32_16x16x32_fp8_fp8 v[12:15], a[104:105], a[0:1], 0// 0000000044B8: D3F3000C 1A020168
	v_mfma_f32_16x16x32_fp8_fp8 v[12:15], a[106:107], a[2:3], v[12:15]// 0000000044C0: D3F3000C 1C32056A
	buffer_load_dwordx4 a[60:63], v49, s[24:27], 0 offen offset:1024// 0000000044C8: E05C1400 80863C31
	v_mfma_f32_16x16x32_fp8_fp8 v[12:15], a[108:109], a[4:5], v[12:15]// 0000000044D0: D3F3000C 1C32096C
	v_mfma_f32_16x16x32_fp8_fp8 v[12:15], a[110:111], a[6:7], v[12:15]// 0000000044D8: D3F3000C 1C320D6E
	v_fma_f32 v76, v8, v6, v76                                 // 0000000044E0: D1CB004C 05320D08
	v_fma_f32 v77, v9, v6, v77                                 // 0000000044E8: D1CB004D 05360D09
	v_fma_f32 v78, v10, v6, v78                                // 0000000044F0: D1CB004E 053A0D0A
	v_fma_f32 v79, v11, v6, v79                                // 0000000044F8: D1CB004F 053E0D0B
	v_mul_f32_dpp v4, v26, v40 row_newbcast:0 row_mask:0xf bank_mask:0xf// 000000004500: 0A0850FA FF01501A
	v_mfma_f32_16x16x32_fp8_fp8 v[8:11], a[80:81], a[8:9], 0   // 000000004508: D3F30008 1A021150
	v_mfma_f32_16x16x32_fp8_fp8 v[8:11], a[82:83], a[10:11], v[8:11]// 000000004510: D3F30008 1C221552
	buffer_load_dwordx4 a[64:67], v50, s[24:27], 0 offen       // 000000004518: E05C1000 80864032
	v_mfma_f32_16x16x32_fp8_fp8 v[8:11], a[84:85], a[12:13], v[8:11]// 000000004520: D3F30008 1C221954
	v_mfma_f32_16x16x32_fp8_fp8 v[8:11], a[86:87], a[14:15], v[8:11]// 000000004528: D3F30008 1C221D56
	v_fma_f32 v88, v12, v6, v88                                // 000000004530: D1CB0058 05620D0C
	v_fma_f32 v89, v13, v6, v89                                // 000000004538: D1CB0059 05660D0D
	v_fma_f32 v90, v14, v6, v90                                // 000000004540: D1CB005A 056A0D0E
	v_fma_f32 v91, v15, v6, v91                                // 000000004548: D1CB005B 056E0D0F
	v_mfma_f32_16x16x32_fp8_fp8 v[12:15], a[88:89], a[8:9], 0  // 000000004550: D3F3000C 1A021158
	v_mfma_f32_16x16x32_fp8_fp8 v[12:15], a[90:91], a[10:11], v[12:15]// 000000004558: D3F3000C 1C32155A
	buffer_load_dwordx4 a[68:71], v50, s[24:27], 0 offen offset:1024// 000000004560: E05C1400 80864432
	v_mfma_f32_16x16x32_fp8_fp8 v[12:15], a[92:93], a[12:13], v[12:15]// 000000004568: D3F3000C 1C32195C
	v_mfma_f32_16x16x32_fp8_fp8 v[12:15], a[94:95], a[14:15], v[12:15]// 000000004570: D3F3000C 1C321D5E
	v_fma_f32 v56, v8, v4, v56                                 // 000000004578: D1CB0038 04E20908
	v_fma_f32 v57, v9, v4, v57                                 // 000000004580: D1CB0039 04E60909
	v_fma_f32 v58, v10, v4, v58                                // 000000004588: D1CB003A 04EA090A
	v_fma_f32 v59, v11, v4, v59                                // 000000004590: D1CB003B 04EE090B
	v_mul_f32_dpp v6, v26, v40 row_newbcast:1 row_mask:0xf bank_mask:0xf// 000000004598: 0A0C50FA FF01511A
	v_mfma_f32_16x16x32_fp8_fp8 v[8:11], a[96:97], a[8:9], 0   // 0000000045A0: D3F30008 1A021160
	v_mfma_f32_16x16x32_fp8_fp8 v[8:11], a[98:99], a[10:11], v[8:11]// 0000000045A8: D3F30008 1C221562
	buffer_load_dwordx4 a[72:75], v51, s[24:27], 0 offen       // 0000000045B0: E05C1000 80864833
	v_mfma_f32_16x16x32_fp8_fp8 v[8:11], a[100:101], a[12:13], v[8:11]// 0000000045B8: D3F30008 1C221964
	v_mfma_f32_16x16x32_fp8_fp8 v[8:11], a[102:103], a[14:15], v[8:11]// 0000000045C0: D3F30008 1C221D66
	v_fma_f32 v68, v12, v4, v68                                // 0000000045C8: D1CB0044 0512090C
	v_fma_f32 v69, v13, v4, v69                                // 0000000045D0: D1CB0045 0516090D
	v_fma_f32 v70, v14, v4, v70                                // 0000000045D8: D1CB0046 051A090E
	v_fma_f32 v71, v15, v4, v71                                // 0000000045E0: D1CB0047 051E090F
	v_mfma_f32_16x16x32_fp8_fp8 v[12:15], a[104:105], a[8:9], 0// 0000000045E8: D3F3000C 1A021168
	v_mfma_f32_16x16x32_fp8_fp8 v[12:15], a[106:107], a[10:11], v[12:15]// 0000000045F0: D3F3000C 1C32156A
	buffer_load_dwordx4 a[76:79], v51, s[24:27], 0 offen offset:1024// 0000000045F8: E05C1400 80864C33
	buffer_load_dword v42, s[20:23], 0 offen lds               // 000000004600: E0511000 8005002A
	s_add_u32 m0, 0x100, s49                                   // 000000004608: 807C31FF 00000100
	v_mfma_f32_16x16x32_fp8_fp8 v[12:15], a[108:109], a[12:13], v[12:15]// 000000004610: D3F3000C 1C32196C
	v_mfma_f32_16x16x32_fp8_fp8 v[12:15], a[110:111], a[14:15], v[12:15]// 000000004618: D3F3000C 1C321D6E
	buffer_load_dword v43, s[20:23], 0 offen lds               // 000000004620: E0511000 8005002B
	s_add_u32 m0, 0x200, s49                                   // 000000004628: 807C31FF 00000200
	v_fma_f32 v80, v8, v6, v80                                 // 000000004630: D1CB0050 05420D08
	v_fma_f32 v81, v9, v6, v81                                 // 000000004638: D1CB0051 05460D09
	v_fma_f32 v82, v10, v6, v82                                // 000000004640: D1CB0052 054A0D0A
	v_fma_f32 v83, v11, v6, v83                                // 000000004648: D1CB0053 054E0D0B
	v_mul_f32_dpp v4, v26, v41 row_newbcast:0 row_mask:0xf bank_mask:0xf// 000000004650: 0A0852FA FF01501A
	v_mfma_f32_16x16x32_fp8_fp8 v[8:11], a[80:81], a[16:17], 0 // 000000004658: D3F30008 1A022150
	v_mfma_f32_16x16x32_fp8_fp8 v[8:11], a[82:83], a[18:19], v[8:11]// 000000004660: D3F30008 1C222552
	buffer_load_dword v44, s[20:23], 0 offen lds               // 000000004668: E0511000 8005002C
	s_add_u32 m0, 0x300, s49                                   // 000000004670: 807C31FF 00000300
	v_mfma_f32_16x16x32_fp8_fp8 v[8:11], a[84:85], a[20:21], v[8:11]// 000000004678: D3F30008 1C222954
	v_mfma_f32_16x16x32_fp8_fp8 v[8:11], a[86:87], a[22:23], v[8:11]// 000000004680: D3F30008 1C222D56
	buffer_load_dword v45, s[20:23], 0 offen lds               // 000000004688: E0511000 8005002D
	s_add_u32 m0, 0x400, s49                                   // 000000004690: 807C31FF 00000400
	v_fma_f32 v92, v12, v6, v92                                // 000000004698: D1CB005C 05720D0C
	v_fma_f32 v93, v13, v6, v93                                // 0000000046A0: D1CB005D 05760D0D
	v_fma_f32 v94, v14, v6, v94                                // 0000000046A8: D1CB005E 057A0D0E
	v_fma_f32 v95, v15, v6, v95                                // 0000000046B0: D1CB005F 057E0D0F
	v_mfma_f32_16x16x32_fp8_fp8 v[12:15], a[88:89], a[16:17], 0// 0000000046B8: D3F3000C 1A022158
	v_mfma_f32_16x16x32_fp8_fp8 v[12:15], a[90:91], a[18:19], v[12:15]// 0000000046C0: D3F3000C 1C32255A
	buffer_load_dword v46, s[20:23], 0 offen lds               // 0000000046C8: E0511000 8005002E
	s_add_u32 m0, 0x500, s49                                   // 0000000046D0: 807C31FF 00000500
	v_mfma_f32_16x16x32_fp8_fp8 v[12:15], a[92:93], a[20:21], v[12:15]// 0000000046D8: D3F3000C 1C32295C
	v_mfma_f32_16x16x32_fp8_fp8 v[12:15], a[94:95], a[22:23], v[12:15]// 0000000046E0: D3F3000C 1C322D5E
	buffer_load_dword v47, s[20:23], 0 offen lds               // 0000000046E8: E0511000 8005002F
	s_add_u32 m0, 0, s50                                       // 0000000046F0: 807C3280
	v_fma_f32 v60, v8, v4, v60                                 // 0000000046F4: D1CB003C 04F20908
	v_fma_f32 v61, v9, v4, v61                                 // 0000000046FC: D1CB003D 04F60909
	v_fma_f32 v62, v10, v4, v62                                // 000000004704: D1CB003E 04FA090A
	v_fma_f32 v63, v11, v4, v63                                // 00000000470C: D1CB003F 04FE090B
	v_mul_f32_dpp v6, v26, v41 row_newbcast:1 row_mask:0xf bank_mask:0xf// 000000004714: 0A0C52FA FF01511A
	v_mfma_f32_16x16x32_fp8_fp8 v[8:11], a[96:97], a[16:17], 0 // 00000000471C: D3F30008 1A022160
	v_mfma_f32_16x16x32_fp8_fp8 v[8:11], a[98:99], a[18:19], v[8:11]// 000000004724: D3F30008 1C222562
	buffer_load_dword v36, v30, s[28:31], 0 offen              // 00000000472C: E0501000 8007241E
	v_mfma_f32_16x16x32_fp8_fp8 v[8:11], a[100:101], a[20:21], v[8:11]// 000000004734: D3F30008 1C222964
	v_mfma_f32_16x16x32_fp8_fp8 v[8:11], a[102:103], a[22:23], v[8:11]// 00000000473C: D3F30008 1C222D66
	buffer_load_dword v37, v31, s[28:31], 0 offen              // 000000004744: E0501000 8007251F
	v_fma_f32 v72, v12, v4, v72                                // 00000000474C: D1CB0048 0522090C
	v_fma_f32 v73, v13, v4, v73                                // 000000004754: D1CB0049 0526090D
	v_fma_f32 v74, v14, v4, v74                                // 00000000475C: D1CB004A 052A090E
	v_fma_f32 v75, v15, v4, v75                                // 000000004764: D1CB004B 052E090F
	v_mfma_f32_16x16x32_fp8_fp8 v[12:15], a[104:105], a[16:17], 0// 00000000476C: D3F3000C 1A022168
	v_mfma_f32_16x16x32_fp8_fp8 v[12:15], a[106:107], a[18:19], v[12:15]// 000000004774: D3F3000C 1C32256A
	buffer_load_dword v38, v32, s[28:31], 0 offen              // 00000000477C: E0501000 80072620
	v_mfma_f32_16x16x32_fp8_fp8 v[12:15], a[108:109], a[20:21], v[12:15]// 000000004784: D3F3000C 1C32296C
	v_mfma_f32_16x16x32_fp8_fp8 v[12:15], a[110:111], a[22:23], v[12:15]// 00000000478C: D3F3000C 1C322D6E
	v_fma_f32 v84, v8, v6, v84                                 // 000000004794: D1CB0054 05520D08
	v_fma_f32 v85, v9, v6, v85                                 // 00000000479C: D1CB0055 05560D09
	v_fma_f32 v86, v10, v6, v86                                // 0000000047A4: D1CB0056 055A0D0A
	v_fma_f32 v87, v11, v6, v87                                // 0000000047AC: D1CB0057 055E0D0B
	v_fma_f32 v96, v12, v6, v96                                // 0000000047B4: D1CB0060 05820D0C
	v_fma_f32 v97, v13, v6, v97                                // 0000000047BC: D1CB0061 05860D0D
	v_fma_f32 v98, v14, v6, v98                                // 0000000047C4: D1CB0062 058A0D0E
	v_fma_f32 v99, v15, v6, v99                                // 0000000047CC: D1CB0063 058E0D0F
	s_waitcnt vmcnt(18)                                        // 0000000047D4: BF8C4F72
	s_barrier                                                  // 0000000047D8: BF8A0000
	v_mul_f32_dpp v4, v29, v39 row_newbcast:0 row_mask:0xf bank_mask:0xf// 0000000047DC: 0A084EFA FF01501D
	v_mfma_f32_16x16x32_fp8_fp8 v[8:11], a[112:113], a[0:1], 0 // 0000000047E4: D3F30008 1A020170
	buffer_load_dword v27, v23, s[32:35], 0 offen              // 0000000047EC: E0501000 80081B17
	v_mfma_f32_16x16x32_fp8_fp8 v[8:11], a[114:115], a[2:3], v[8:11]// 0000000047F4: D3F30008 1C220572
	buffer_load_dwordx4 a[80:83], v48, s[84:87], 0 offen       // 0000000047FC: E05C1000 80955030
	v_mfma_f32_16x16x32_fp8_fp8 v[8:11], a[116:117], a[4:5], v[8:11]// 000000004804: D3F30008 1C220974
	v_mfma_f32_16x16x32_fp8_fp8 v[8:11], a[118:119], a[6:7], v[8:11]// 00000000480C: D3F30008 1C220D76
	ds_read_b128 a[24:27], v2                                  // 000000004814: DBFE0000 18000002
	ds_read_b128 a[28:31], v2 offset:64                        // 00000000481C: DBFE0040 1C000002
	v_mfma_f32_16x16x32_fp8_fp8 v[12:15], a[120:121], a[0:1], 0// 000000004824: D3F3000C 1A020178
	v_mfma_f32_16x16x32_fp8_fp8 v[12:15], a[122:123], a[2:3], v[12:15]// 00000000482C: D3F3000C 1C32057A
	buffer_load_dwordx4 a[84:87], v48, s[84:87], 0 offen offset:1024// 000000004834: E05C1400 80955430
	v_mfma_f32_16x16x32_fp8_fp8 v[12:15], a[124:125], a[4:5], v[12:15]// 00000000483C: D3F3000C 1C32097C
	v_mfma_f32_16x16x32_fp8_fp8 v[12:15], a[126:127], a[6:7], v[12:15]// 000000004844: D3F3000C 1C320D7E
	ds_read_b128 a[32:35], v2 offset:512                       // 00000000484C: DBFE0200 20000002
	ds_read_b128 a[36:39], v2 offset:576                       // 000000004854: DBFE0240 24000002
	v_fma_f32 v100, v8, v4, v100                               // 00000000485C: D1CB0064 05920908
	v_fma_f32 v101, v9, v4, v101                               // 000000004864: D1CB0065 05960909
	v_fma_f32 v102, v10, v4, v102                              // 00000000486C: D1CB0066 059A090A
	v_fma_f32 v103, v11, v4, v103                              // 000000004874: D1CB0067 059E090B
	v_mul_f32_dpp v6, v29, v39 row_newbcast:1 row_mask:0xf bank_mask:0xf// 00000000487C: 0A0C4EFA FF01511D
	v_mfma_f32_16x16x32_fp8_fp8 v[8:11], a[128:129], a[0:1], 0 // 000000004884: D3F30008 1A020180
	v_mfma_f32_16x16x32_fp8_fp8 v[8:11], a[130:131], a[2:3], v[8:11]// 00000000488C: D3F30008 1C220582
	buffer_load_dwordx4 a[88:91], v49, s[84:87], 0 offen       // 000000004894: E05C1000 80955831
	v_mfma_f32_16x16x32_fp8_fp8 v[8:11], a[132:133], a[4:5], v[8:11]// 00000000489C: D3F30008 1C220984
	v_mfma_f32_16x16x32_fp8_fp8 v[8:11], a[134:135], a[6:7], v[8:11]// 0000000048A4: D3F30008 1C220D86
	ds_read_b128 a[40:43], v2 offset:1024                      // 0000000048AC: DBFE0400 28000002
	ds_read_b128 a[44:47], v2 offset:1088                      // 0000000048B4: DBFE0440 2C000002
	v_fma_f32 v112, v12, v4, v112                              // 0000000048BC: D1CB0070 05C2090C
	v_fma_f32 v113, v13, v4, v113                              // 0000000048C4: D1CB0071 05C6090D
	v_fma_f32 v114, v14, v4, v114                              // 0000000048CC: D1CB0072 05CA090E
	v_fma_f32 v115, v15, v4, v115                              // 0000000048D4: D1CB0073 05CE090F
	v_mfma_f32_16x16x32_fp8_fp8 v[12:15], a[136:137], a[0:1], 0// 0000000048DC: D3F3000C 1A020188
	v_mfma_f32_16x16x32_fp8_fp8 v[12:15], a[138:139], a[2:3], v[12:15]// 0000000048E4: D3F3000C 1C32058A
	buffer_load_dwordx4 a[92:95], v49, s[84:87], 0 offen offset:1024// 0000000048EC: E05C1400 80955C31
	v_mfma_f32_16x16x32_fp8_fp8 v[12:15], a[140:141], a[4:5], v[12:15]// 0000000048F4: D3F3000C 1C32098C
	v_mfma_f32_16x16x32_fp8_fp8 v[12:15], a[142:143], a[6:7], v[12:15]// 0000000048FC: D3F3000C 1C320D8E
	v_fma_f32 v124, v8, v6, v124                               // 000000004904: D1CB007C 05F20D08
	v_fma_f32 v125, v9, v6, v125                               // 00000000490C: D1CB007D 05F60D09
	v_fma_f32 v126, v10, v6, v126                              // 000000004914: D1CB007E 05FA0D0A
	v_fma_f32 v127, v11, v6, v127                              // 00000000491C: D1CB007F 05FE0D0B
	v_mul_f32_dpp v4, v29, v40 row_newbcast:0 row_mask:0xf bank_mask:0xf// 000000004924: 0A0850FA FF01501D
	v_mfma_f32_16x16x32_fp8_fp8 v[8:11], a[112:113], a[8:9], 0 // 00000000492C: D3F30008 1A021170
	v_mfma_f32_16x16x32_fp8_fp8 v[8:11], a[114:115], a[10:11], v[8:11]// 000000004934: D3F30008 1C221572
	buffer_load_dwordx4 a[96:99], v50, s[84:87], 0 offen       // 00000000493C: E05C1000 80956032
	v_mfma_f32_16x16x32_fp8_fp8 v[8:11], a[116:117], a[12:13], v[8:11]// 000000004944: D3F30008 1C221974
	v_mfma_f32_16x16x32_fp8_fp8 v[8:11], a[118:119], a[14:15], v[8:11]// 00000000494C: D3F30008 1C221D76
	v_fma_f32 v136, v12, v6, v136                              // 000000004954: D1CB0088 06220D0C
	v_fma_f32 v137, v13, v6, v137                              // 00000000495C: D1CB0089 06260D0D
	v_fma_f32 v138, v14, v6, v138                              // 000000004964: D1CB008A 062A0D0E
	v_fma_f32 v139, v15, v6, v139                              // 00000000496C: D1CB008B 062E0D0F
	v_mfma_f32_16x16x32_fp8_fp8 v[12:15], a[120:121], a[8:9], 0// 000000004974: D3F3000C 1A021178
	v_mfma_f32_16x16x32_fp8_fp8 v[12:15], a[122:123], a[10:11], v[12:15]// 00000000497C: D3F3000C 1C32157A
	buffer_load_dwordx4 a[100:103], v50, s[84:87], 0 offen offset:1024// 000000004984: E05C1400 80956432
	v_mfma_f32_16x16x32_fp8_fp8 v[12:15], a[124:125], a[12:13], v[12:15]// 00000000498C: D3F3000C 1C32197C
	v_mfma_f32_16x16x32_fp8_fp8 v[12:15], a[126:127], a[14:15], v[12:15]// 000000004994: D3F3000C 1C321D7E
	v_fma_f32 v104, v8, v4, v104                               // 00000000499C: D1CB0068 05A20908
	v_fma_f32 v105, v9, v4, v105                               // 0000000049A4: D1CB0069 05A60909
	v_fma_f32 v106, v10, v4, v106                              // 0000000049AC: D1CB006A 05AA090A
	v_fma_f32 v107, v11, v4, v107                              // 0000000049B4: D1CB006B 05AE090B
	v_mul_f32_dpp v6, v29, v40 row_newbcast:1 row_mask:0xf bank_mask:0xf// 0000000049BC: 0A0C50FA FF01511D
	v_mfma_f32_16x16x32_fp8_fp8 v[8:11], a[128:129], a[8:9], 0 // 0000000049C4: D3F30008 1A021180
	v_mfma_f32_16x16x32_fp8_fp8 v[8:11], a[130:131], a[10:11], v[8:11]// 0000000049CC: D3F30008 1C221582
	buffer_load_dwordx4 a[104:107], v51, s[84:87], 0 offen     // 0000000049D4: E05C1000 80956833
	v_mfma_f32_16x16x32_fp8_fp8 v[8:11], a[132:133], a[12:13], v[8:11]// 0000000049DC: D3F30008 1C221984
	v_mfma_f32_16x16x32_fp8_fp8 v[8:11], a[134:135], a[14:15], v[8:11]// 0000000049E4: D3F30008 1C221D86
	v_fma_f32 v116, v12, v4, v116                              // 0000000049EC: D1CB0074 05D2090C
	v_fma_f32 v117, v13, v4, v117                              // 0000000049F4: D1CB0075 05D6090D
	v_fma_f32 v118, v14, v4, v118                              // 0000000049FC: D1CB0076 05DA090E
	v_fma_f32 v119, v15, v4, v119                              // 000000004A04: D1CB0077 05DE090F
	v_mfma_f32_16x16x32_fp8_fp8 v[12:15], a[136:137], a[8:9], 0// 000000004A0C: D3F3000C 1A021188
	v_mfma_f32_16x16x32_fp8_fp8 v[12:15], a[138:139], a[10:11], v[12:15]// 000000004A14: D3F3000C 1C32158A
	buffer_load_dwordx4 a[108:111], v51, s[84:87], 0 offen offset:1024// 000000004A1C: E05C1400 80956C33
	v_mfma_f32_16x16x32_fp8_fp8 v[12:15], a[140:141], a[12:13], v[12:15]// 000000004A24: D3F3000C 1C32198C
	v_mfma_f32_16x16x32_fp8_fp8 v[12:15], a[142:143], a[14:15], v[12:15]// 000000004A2C: D3F3000C 1C321D8E
	v_fma_f32 v128, v8, v6, v128                               // 000000004A34: D1CB0080 06020D08
	v_fma_f32 v129, v9, v6, v129                               // 000000004A3C: D1CB0081 06060D09
	v_fma_f32 v130, v10, v6, v130                              // 000000004A44: D1CB0082 060A0D0A
	v_fma_f32 v131, v11, v6, v131                              // 000000004A4C: D1CB0083 060E0D0B
	v_mul_f32_dpp v4, v29, v41 row_newbcast:0 row_mask:0xf bank_mask:0xf// 000000004A54: 0A0852FA FF01501D
	v_mfma_f32_16x16x32_fp8_fp8 v[8:11], a[112:113], a[16:17], 0// 000000004A5C: D3F30008 1A022170
	v_mfma_f32_16x16x32_fp8_fp8 v[8:11], a[114:115], a[18:19], v[8:11]// 000000004A64: D3F30008 1C222572
	v_mfma_f32_16x16x32_fp8_fp8 v[8:11], a[116:117], a[20:21], v[8:11]// 000000004A6C: D3F30008 1C222974
	v_mfma_f32_16x16x32_fp8_fp8 v[8:11], a[118:119], a[22:23], v[8:11]// 000000004A74: D3F30008 1C222D76
	v_fma_f32 v140, v12, v6, v140                              // 000000004A7C: D1CB008C 06320D0C
	v_fma_f32 v141, v13, v6, v141                              // 000000004A84: D1CB008D 06360D0D
	v_fma_f32 v142, v14, v6, v142                              // 000000004A8C: D1CB008E 063A0D0E
	v_fma_f32 v143, v15, v6, v143                              // 000000004A94: D1CB008F 063E0D0F
	v_mfma_f32_16x16x32_fp8_fp8 v[12:15], a[120:121], a[16:17], 0// 000000004A9C: D3F3000C 1A022178
	v_mfma_f32_16x16x32_fp8_fp8 v[12:15], a[122:123], a[18:19], v[12:15]// 000000004AA4: D3F3000C 1C32257A
	v_mfma_f32_16x16x32_fp8_fp8 v[12:15], a[124:125], a[20:21], v[12:15]// 000000004AAC: D3F3000C 1C32297C
	v_mfma_f32_16x16x32_fp8_fp8 v[12:15], a[126:127], a[22:23], v[12:15]// 000000004AB4: D3F3000C 1C322D7E
	v_fma_f32 v108, v8, v4, v108                               // 000000004ABC: D1CB006C 05B20908
	v_fma_f32 v109, v9, v4, v109                               // 000000004AC4: D1CB006D 05B60909
	v_fma_f32 v110, v10, v4, v110                              // 000000004ACC: D1CB006E 05BA090A
	v_fma_f32 v111, v11, v4, v111                              // 000000004AD4: D1CB006F 05BE090B
	v_mul_f32_dpp v6, v29, v41 row_newbcast:1 row_mask:0xf bank_mask:0xf// 000000004ADC: 0A0C52FA FF01511D
	v_mfma_f32_16x16x32_fp8_fp8 v[8:11], a[128:129], a[16:17], 0// 000000004AE4: D3F30008 1A022180
	s_add_u32 s60, 0x180, s80                                  // 000000004AEC: 803C50FF 00000180
	s_cmp_lt_u32 s60, s81                                      // 000000004AF4: BF0A513C
	s_cselect_b32 s57, s57, 0                                  // 000000004AF8: 85398039
	s_cselect_b32 s3, s3, 0                                    // 000000004AFC: 85038003
	v_mfma_f32_16x16x32_fp8_fp8 v[8:11], a[130:131], a[18:19], v[8:11]// 000000004B00: D3F30008 1C222582
	s_add_u32 s60, 0x100, s80                                  // 000000004B08: 803C50FF 00000100
	s_cmp_lt_u32 s60, s81                                      // 000000004B10: BF0A513C
	s_cselect_b32 s58, s58, 0                                  // 000000004B14: 853A803A
	v_mfma_f32_16x16x32_fp8_fp8 v[8:11], a[132:133], a[20:21], v[8:11]// 000000004B18: D3F30008 1C222984
	s_add_u32 s60, 0x100, s80                                  // 000000004B20: 803C50FF 00000100
	s_cmp_lt_u32 s60, s81                                      // 000000004B28: BF0A513C
	s_cselect_b32 s83, s83, 0                                  // 000000004B2C: 85538053
	s_cselect_b32 s4, s4, 0                                    // 000000004B30: 85048004
	v_mfma_f32_16x16x32_fp8_fp8 v[8:11], a[134:135], a[22:23], v[8:11]// 000000004B34: D3F30008 1C222D86
	s_add_u32 s24, s58, s24                                    // 000000004B3C: 8018183A
	s_addc_u32 s25, 0, s25                                     // 000000004B40: 82191980
	v_fma_f32 v120, v12, v4, v120                              // 000000004B44: D1CB0078 05E2090C
	v_fma_f32 v121, v13, v4, v121                              // 000000004B4C: D1CB0079 05E6090D
	v_fma_f32 v122, v14, v4, v122                              // 000000004B54: D1CB007A 05EA090E
	v_fma_f32 v123, v15, v4, v123                              // 000000004B5C: D1CB007B 05EE090F
	v_mfma_f32_16x16x32_fp8_fp8 v[12:15], a[136:137], a[16:17], 0// 000000004B64: D3F3000C 1A022188
	s_add_u32 s20, s57, s20                                    // 000000004B6C: 80141439
	s_addc_u32 s21, 0, s21                                     // 000000004B70: 82151580
	s_add_u32 s28, s3, s28                                     // 000000004B74: 801C1C03
	s_addc_u32 s29, 0, s29                                     // 000000004B78: 821D1D80
	v_mfma_f32_16x16x32_fp8_fp8 v[12:15], a[138:139], a[18:19], v[12:15]// 000000004B7C: D3F3000C 1C32258A
	s_add_u32 s84, s83, s84                                    // 000000004B84: 80545453
	s_addc_u32 s85, 0, s85                                     // 000000004B88: 82555580
	v_mfma_f32_16x16x32_fp8_fp8 v[12:15], a[140:141], a[20:21], v[12:15]// 000000004B8C: D3F3000C 1C32298C
	s_add_u32 s32, s4, s32                                     // 000000004B94: 80202004
	s_addc_u32 s33, 0, s33                                     // 000000004B98: 82212180
	v_mfma_f32_16x16x32_fp8_fp8 v[12:15], a[142:143], a[22:23], v[12:15]// 000000004B9C: D3F3000C 1C322D8E
	v_fma_f32 v132, v8, v6, v132                               // 000000004BA4: D1CB0084 06120D08
	v_fma_f32 v133, v9, v6, v133                               // 000000004BAC: D1CB0085 06160D09
	v_fma_f32 v134, v10, v6, v134                              // 000000004BB4: D1CB0086 061A0D0A
	v_fma_f32 v135, v11, v6, v135                              // 000000004BBC: D1CB0087 061E0D0B
	v_fma_f32 v144, v12, v6, v144                              // 000000004BC4: D1CB0090 06420D0C
	v_fma_f32 v145, v13, v6, v145                              // 000000004BCC: D1CB0091 06460D0D
	v_fma_f32 v146, v14, v6, v146                              // 000000004BD4: D1CB0092 064A0D0E
	v_fma_f32 v147, v15, v6, v147                              // 000000004BDC: D1CB0093 064E0D0F
	s_addk_i32 s80, 0x80                                       // 000000004BE4: B7500080
	s_cmp_lt_i32 s80, s81                                      // 000000004BE8: BF045150
	s_cbranch_scc0 label_0E86                                  // 000000004BEC: BF84060A
	s_waitcnt vmcnt(18) lgkmcnt(0)                             // 000000004BF0: BF8C4072
	v_mul_f32_dpp v4, v24, v33 row_newbcast:0 row_mask:0xf bank_mask:0xf// 000000004BF4: 0A0842FA FF015018
	v_mfma_f32_16x16x32_fp8_fp8 v[8:11], a[48:49], a[24:25], 0 // 000000004BFC: D3F30008 1A023130
	buffer_load_dword v25, v22, s[32:35], 0 offen              // 000000004C04: E0501000 80081916
	v_mfma_f32_16x16x32_fp8_fp8 v[8:11], a[50:51], a[26:27], v[8:11]// 000000004C0C: D3F30008 1C223532
	buffer_load_dwordx4 a[112:115], v48, s[24:27], 0 offen     // 000000004C14: E05C1000 80867030
	v_mfma_f32_16x16x32_fp8_fp8 v[8:11], a[52:53], a[28:29], v[8:11]// 000000004C1C: D3F30008 1C223934
	v_mfma_f32_16x16x32_fp8_fp8 v[8:11], a[54:55], a[30:31], v[8:11]// 000000004C24: D3F30008 1C223D36
	v_mfma_f32_16x16x32_fp8_fp8 v[12:15], a[56:57], a[24:25], 0// 000000004C2C: D3F3000C 1A023138
	v_mfma_f32_16x16x32_fp8_fp8 v[12:15], a[58:59], a[26:27], v[12:15]// 000000004C34: D3F3000C 1C32353A
	buffer_load_dwordx4 a[116:119], v48, s[24:27], 0 offen offset:1024// 000000004C3C: E05C1400 80867430
	v_mfma_f32_16x16x32_fp8_fp8 v[12:15], a[60:61], a[28:29], v[12:15]// 000000004C44: D3F3000C 1C32393C
	v_mfma_f32_16x16x32_fp8_fp8 v[12:15], a[62:63], a[30:31], v[12:15]// 000000004C4C: D3F3000C 1C323D3E
	v_fma_f32 v52, v8, v4, v52                                 // 000000004C54: D1CB0034 04D20908
	v_fma_f32 v53, v9, v4, v53                                 // 000000004C5C: D1CB0035 04D60909
	v_fma_f32 v54, v10, v4, v54                                // 000000004C64: D1CB0036 04DA090A
	v_fma_f32 v55, v11, v4, v55                                // 000000004C6C: D1CB0037 04DE090B
	v_mul_f32_dpp v6, v24, v33 row_newbcast:1 row_mask:0xf bank_mask:0xf// 000000004C74: 0A0C42FA FF015118
	v_mfma_f32_16x16x32_fp8_fp8 v[8:11], a[64:65], a[24:25], 0 // 000000004C7C: D3F30008 1A023140
	v_mfma_f32_16x16x32_fp8_fp8 v[8:11], a[66:67], a[26:27], v[8:11]// 000000004C84: D3F30008 1C223542
	buffer_load_dwordx4 a[120:123], v49, s[24:27], 0 offen     // 000000004C8C: E05C1000 80867831
	v_mfma_f32_16x16x32_fp8_fp8 v[8:11], a[68:69], a[28:29], v[8:11]// 000000004C94: D3F30008 1C223944
	v_mfma_f32_16x16x32_fp8_fp8 v[8:11], a[70:71], a[30:31], v[8:11]// 000000004C9C: D3F30008 1C223D46
	v_fma_f32 v64, v12, v4, v64                                // 000000004CA4: D1CB0040 0502090C
	v_fma_f32 v65, v13, v4, v65                                // 000000004CAC: D1CB0041 0506090D
	v_fma_f32 v66, v14, v4, v66                                // 000000004CB4: D1CB0042 050A090E
	v_fma_f32 v67, v15, v4, v67                                // 000000004CBC: D1CB0043 050E090F
	v_mfma_f32_16x16x32_fp8_fp8 v[12:15], a[72:73], a[24:25], 0// 000000004CC4: D3F3000C 1A023148
	v_mfma_f32_16x16x32_fp8_fp8 v[12:15], a[74:75], a[26:27], v[12:15]// 000000004CCC: D3F3000C 1C32354A
	buffer_load_dwordx4 a[124:127], v49, s[24:27], 0 offen offset:1024// 000000004CD4: E05C1400 80867C31
	v_mfma_f32_16x16x32_fp8_fp8 v[12:15], a[76:77], a[28:29], v[12:15]// 000000004CDC: D3F3000C 1C32394C
	v_mfma_f32_16x16x32_fp8_fp8 v[12:15], a[78:79], a[30:31], v[12:15]// 000000004CE4: D3F3000C 1C323D4E
	v_fma_f32 v76, v8, v6, v76                                 // 000000004CEC: D1CB004C 05320D08
	v_fma_f32 v77, v9, v6, v77                                 // 000000004CF4: D1CB004D 05360D09
	v_fma_f32 v78, v10, v6, v78                                // 000000004CFC: D1CB004E 053A0D0A
	v_fma_f32 v79, v11, v6, v79                                // 000000004D04: D1CB004F 053E0D0B
	v_mul_f32_dpp v4, v24, v34 row_newbcast:0 row_mask:0xf bank_mask:0xf// 000000004D0C: 0A0844FA FF015018
	v_mfma_f32_16x16x32_fp8_fp8 v[8:11], a[48:49], a[32:33], 0 // 000000004D14: D3F30008 1A024130
	v_mfma_f32_16x16x32_fp8_fp8 v[8:11], a[50:51], a[34:35], v[8:11]// 000000004D1C: D3F30008 1C224532
	buffer_load_dwordx4 a[128:131], v50, s[24:27], 0 offen     // 000000004D24: E05C1000 80868032
	v_mfma_f32_16x16x32_fp8_fp8 v[8:11], a[52:53], a[36:37], v[8:11]// 000000004D2C: D3F30008 1C224934
	v_mfma_f32_16x16x32_fp8_fp8 v[8:11], a[54:55], a[38:39], v[8:11]// 000000004D34: D3F30008 1C224D36
	v_fma_f32 v88, v12, v6, v88                                // 000000004D3C: D1CB0058 05620D0C
	v_fma_f32 v89, v13, v6, v89                                // 000000004D44: D1CB0059 05660D0D
	v_fma_f32 v90, v14, v6, v90                                // 000000004D4C: D1CB005A 056A0D0E
	v_fma_f32 v91, v15, v6, v91                                // 000000004D54: D1CB005B 056E0D0F
	v_mfma_f32_16x16x32_fp8_fp8 v[12:15], a[56:57], a[32:33], 0// 000000004D5C: D3F3000C 1A024138
	v_mfma_f32_16x16x32_fp8_fp8 v[12:15], a[58:59], a[34:35], v[12:15]// 000000004D64: D3F3000C 1C32453A
	buffer_load_dwordx4 a[132:135], v50, s[24:27], 0 offen offset:1024// 000000004D6C: E05C1400 80868432
	v_mfma_f32_16x16x32_fp8_fp8 v[12:15], a[60:61], a[36:37], v[12:15]// 000000004D74: D3F3000C 1C32493C
	v_mfma_f32_16x16x32_fp8_fp8 v[12:15], a[62:63], a[38:39], v[12:15]// 000000004D7C: D3F3000C 1C324D3E
	v_fma_f32 v56, v8, v4, v56                                 // 000000004D84: D1CB0038 04E20908
	v_fma_f32 v57, v9, v4, v57                                 // 000000004D8C: D1CB0039 04E60909
	v_fma_f32 v58, v10, v4, v58                                // 000000004D94: D1CB003A 04EA090A
	v_fma_f32 v59, v11, v4, v59                                // 000000004D9C: D1CB003B 04EE090B
	v_mul_f32_dpp v6, v24, v34 row_newbcast:1 row_mask:0xf bank_mask:0xf// 000000004DA4: 0A0C44FA FF015118
	v_mfma_f32_16x16x32_fp8_fp8 v[8:11], a[64:65], a[32:33], 0 // 000000004DAC: D3F30008 1A024140
	v_mfma_f32_16x16x32_fp8_fp8 v[8:11], a[66:67], a[34:35], v[8:11]// 000000004DB4: D3F30008 1C224542
	buffer_load_dwordx4 a[136:139], v51, s[24:27], 0 offen     // 000000004DBC: E05C1000 80868833
	v_mfma_f32_16x16x32_fp8_fp8 v[8:11], a[68:69], a[36:37], v[8:11]// 000000004DC4: D3F30008 1C224944
	v_mfma_f32_16x16x32_fp8_fp8 v[8:11], a[70:71], a[38:39], v[8:11]// 000000004DCC: D3F30008 1C224D46
	v_fma_f32 v68, v12, v4, v68                                // 000000004DD4: D1CB0044 0512090C
	v_fma_f32 v69, v13, v4, v69                                // 000000004DDC: D1CB0045 0516090D
	v_fma_f32 v70, v14, v4, v70                                // 000000004DE4: D1CB0046 051A090E
	v_fma_f32 v71, v15, v4, v71                                // 000000004DEC: D1CB0047 051E090F
	v_mfma_f32_16x16x32_fp8_fp8 v[12:15], a[72:73], a[32:33], 0// 000000004DF4: D3F3000C 1A024148
	v_mfma_f32_16x16x32_fp8_fp8 v[12:15], a[74:75], a[34:35], v[12:15]// 000000004DFC: D3F3000C 1C32454A
	buffer_load_dwordx4 a[140:143], v51, s[24:27], 0 offen offset:1024// 000000004E04: E05C1400 80868C33
	buffer_load_dword v42, s[20:23], 0 offen lds               // 000000004E0C: E0511000 8005002A
	s_add_u32 m0, 0x100, s50                                   // 000000004E14: 807C32FF 00000100
	v_mfma_f32_16x16x32_fp8_fp8 v[12:15], a[76:77], a[36:37], v[12:15]// 000000004E1C: D3F3000C 1C32494C
	v_mfma_f32_16x16x32_fp8_fp8 v[12:15], a[78:79], a[38:39], v[12:15]// 000000004E24: D3F3000C 1C324D4E
	buffer_load_dword v43, s[20:23], 0 offen lds               // 000000004E2C: E0511000 8005002B
	s_add_u32 m0, 0x200, s50                                   // 000000004E34: 807C32FF 00000200
	v_fma_f32 v80, v8, v6, v80                                 // 000000004E3C: D1CB0050 05420D08
	v_fma_f32 v81, v9, v6, v81                                 // 000000004E44: D1CB0051 05460D09
	v_fma_f32 v82, v10, v6, v82                                // 000000004E4C: D1CB0052 054A0D0A
	v_fma_f32 v83, v11, v6, v83                                // 000000004E54: D1CB0053 054E0D0B
	v_mul_f32_dpp v4, v24, v35 row_newbcast:0 row_mask:0xf bank_mask:0xf// 000000004E5C: 0A0846FA FF015018
	v_mfma_f32_16x16x32_fp8_fp8 v[8:11], a[48:49], a[40:41], 0 // 000000004E64: D3F30008 1A025130
	v_mfma_f32_16x16x32_fp8_fp8 v[8:11], a[50:51], a[42:43], v[8:11]// 000000004E6C: D3F30008 1C225532
	buffer_load_dword v44, s[20:23], 0 offen lds               // 000000004E74: E0511000 8005002C
	s_add_u32 m0, 0x300, s50                                   // 000000004E7C: 807C32FF 00000300
	v_mfma_f32_16x16x32_fp8_fp8 v[8:11], a[52:53], a[44:45], v[8:11]// 000000004E84: D3F30008 1C225934
	v_mfma_f32_16x16x32_fp8_fp8 v[8:11], a[54:55], a[46:47], v[8:11]// 000000004E8C: D3F30008 1C225D36
	buffer_load_dword v45, s[20:23], 0 offen lds               // 000000004E94: E0511000 8005002D
	s_add_u32 m0, 0x400, s50                                   // 000000004E9C: 807C32FF 00000400
	v_fma_f32 v92, v12, v6, v92                                // 000000004EA4: D1CB005C 05720D0C
	v_fma_f32 v93, v13, v6, v93                                // 000000004EAC: D1CB005D 05760D0D
	v_fma_f32 v94, v14, v6, v94                                // 000000004EB4: D1CB005E 057A0D0E
	v_fma_f32 v95, v15, v6, v95                                // 000000004EBC: D1CB005F 057E0D0F
	v_mfma_f32_16x16x32_fp8_fp8 v[12:15], a[56:57], a[40:41], 0// 000000004EC4: D3F3000C 1A025138
	v_mfma_f32_16x16x32_fp8_fp8 v[12:15], a[58:59], a[42:43], v[12:15]// 000000004ECC: D3F3000C 1C32553A
	buffer_load_dword v46, s[20:23], 0 offen lds               // 000000004ED4: E0511000 8005002E
	s_add_u32 m0, 0x500, s50                                   // 000000004EDC: 807C32FF 00000500
	v_mfma_f32_16x16x32_fp8_fp8 v[12:15], a[60:61], a[44:45], v[12:15]// 000000004EE4: D3F3000C 1C32593C
	v_mfma_f32_16x16x32_fp8_fp8 v[12:15], a[62:63], a[46:47], v[12:15]// 000000004EEC: D3F3000C 1C325D3E
	buffer_load_dword v47, s[20:23], 0 offen lds               // 000000004EF4: E0511000 8005002F
	s_add_u32 m0, 0, s48                                       // 000000004EFC: 807C3080
	v_fma_f32 v60, v8, v4, v60                                 // 000000004F00: D1CB003C 04F20908
	v_fma_f32 v61, v9, v4, v61                                 // 000000004F08: D1CB003D 04F60909
	v_fma_f32 v62, v10, v4, v62                                // 000000004F10: D1CB003E 04FA090A
	v_fma_f32 v63, v11, v4, v63                                // 000000004F18: D1CB003F 04FE090B
	v_mul_f32_dpp v6, v24, v35 row_newbcast:1 row_mask:0xf bank_mask:0xf// 000000004F20: 0A0C46FA FF015118
	v_mfma_f32_16x16x32_fp8_fp8 v[8:11], a[64:65], a[40:41], 0 // 000000004F28: D3F30008 1A025140
	v_mfma_f32_16x16x32_fp8_fp8 v[8:11], a[66:67], a[42:43], v[8:11]// 000000004F30: D3F30008 1C225542
	buffer_load_dword v39, v30, s[28:31], 0 offen              // 000000004F38: E0501000 8007271E
	v_mfma_f32_16x16x32_fp8_fp8 v[8:11], a[68:69], a[44:45], v[8:11]// 000000004F40: D3F30008 1C225944
	v_mfma_f32_16x16x32_fp8_fp8 v[8:11], a[70:71], a[46:47], v[8:11]// 000000004F48: D3F30008 1C225D46
	buffer_load_dword v40, v31, s[28:31], 0 offen              // 000000004F50: E0501000 8007281F
	v_fma_f32 v72, v12, v4, v72                                // 000000004F58: D1CB0048 0522090C
	v_fma_f32 v73, v13, v4, v73                                // 000000004F60: D1CB0049 0526090D
	v_fma_f32 v74, v14, v4, v74                                // 000000004F68: D1CB004A 052A090E
	v_fma_f32 v75, v15, v4, v75                                // 000000004F70: D1CB004B 052E090F
	v_mfma_f32_16x16x32_fp8_fp8 v[12:15], a[72:73], a[40:41], 0// 000000004F78: D3F3000C 1A025148
	v_mfma_f32_16x16x32_fp8_fp8 v[12:15], a[74:75], a[42:43], v[12:15]// 000000004F80: D3F3000C 1C32554A
	buffer_load_dword v41, v32, s[28:31], 0 offen              // 000000004F88: E0501000 80072920
	v_mfma_f32_16x16x32_fp8_fp8 v[12:15], a[76:77], a[44:45], v[12:15]// 000000004F90: D3F3000C 1C32594C
	v_mfma_f32_16x16x32_fp8_fp8 v[12:15], a[78:79], a[46:47], v[12:15]// 000000004F98: D3F3000C 1C325D4E
	v_fma_f32 v84, v8, v6, v84                                 // 000000004FA0: D1CB0054 05520D08
	v_fma_f32 v85, v9, v6, v85                                 // 000000004FA8: D1CB0055 05560D09
	v_fma_f32 v86, v10, v6, v86                                // 000000004FB0: D1CB0056 055A0D0A
	v_fma_f32 v87, v11, v6, v87                                // 000000004FB8: D1CB0057 055E0D0B
	v_fma_f32 v96, v12, v6, v96                                // 000000004FC0: D1CB0060 05820D0C
	v_fma_f32 v97, v13, v6, v97                                // 000000004FC8: D1CB0061 05860D0D
	v_fma_f32 v98, v14, v6, v98                                // 000000004FD0: D1CB0062 058A0D0E
	v_fma_f32 v99, v15, v6, v99                                // 000000004FD8: D1CB0063 058E0D0F
	s_waitcnt vmcnt(18)                                        // 000000004FE0: BF8C4F72
	s_barrier                                                  // 000000004FE4: BF8A0000
	v_mul_f32_dpp v4, v27, v33 row_newbcast:0 row_mask:0xf bank_mask:0xf// 000000004FE8: 0A0842FA FF01501B
	v_mfma_f32_16x16x32_fp8_fp8 v[8:11], a[80:81], a[24:25], 0 // 000000004FF0: D3F30008 1A023150
	buffer_load_dword v28, v23, s[32:35], 0 offen              // 000000004FF8: E0501000 80081C17
	v_mfma_f32_16x16x32_fp8_fp8 v[8:11], a[82:83], a[26:27], v[8:11]// 000000005000: D3F30008 1C223552
	buffer_load_dwordx4 a[48:51], v48, s[84:87], 0 offen       // 000000005008: E05C1000 80953030
	v_mfma_f32_16x16x32_fp8_fp8 v[8:11], a[84:85], a[28:29], v[8:11]// 000000005010: D3F30008 1C223954
	v_mfma_f32_16x16x32_fp8_fp8 v[8:11], a[86:87], a[30:31], v[8:11]// 000000005018: D3F30008 1C223D56
	ds_read_b128 a[0:3], v2 offset:6272                        // 000000005020: DBFE1880 00000002
	ds_read_b128 a[4:7], v2 offset:6336                        // 000000005028: DBFE18C0 04000002
	v_mfma_f32_16x16x32_fp8_fp8 v[12:15], a[88:89], a[24:25], 0// 000000005030: D3F3000C 1A023158
	v_mfma_f32_16x16x32_fp8_fp8 v[12:15], a[90:91], a[26:27], v[12:15]// 000000005038: D3F3000C 1C32355A
	buffer_load_dwordx4 a[52:55], v48, s[84:87], 0 offen offset:1024// 000000005040: E05C1400 80953430
	v_mfma_f32_16x16x32_fp8_fp8 v[12:15], a[92:93], a[28:29], v[12:15]// 000000005048: D3F3000C 1C32395C
	v_mfma_f32_16x16x32_fp8_fp8 v[12:15], a[94:95], a[30:31], v[12:15]// 000000005050: D3F3000C 1C323D5E
	ds_read_b128 a[8:11], v2 offset:6784                       // 000000005058: DBFE1A80 08000002
	ds_read_b128 a[12:15], v2 offset:6848                      // 000000005060: DBFE1AC0 0C000002
	v_fma_f32 v100, v8, v4, v100                               // 000000005068: D1CB0064 05920908
	v_fma_f32 v101, v9, v4, v101                               // 000000005070: D1CB0065 05960909
	v_fma_f32 v102, v10, v4, v102                              // 000000005078: D1CB0066 059A090A
	v_fma_f32 v103, v11, v4, v103                              // 000000005080: D1CB0067 059E090B
	v_mul_f32_dpp v6, v27, v33 row_newbcast:1 row_mask:0xf bank_mask:0xf// 000000005088: 0A0C42FA FF01511B
	v_mfma_f32_16x16x32_fp8_fp8 v[8:11], a[96:97], a[24:25], 0 // 000000005090: D3F30008 1A023160
	v_mfma_f32_16x16x32_fp8_fp8 v[8:11], a[98:99], a[26:27], v[8:11]// 000000005098: D3F30008 1C223562
	buffer_load_dwordx4 a[56:59], v49, s[84:87], 0 offen       // 0000000050A0: E05C1000 80953831
	v_mfma_f32_16x16x32_fp8_fp8 v[8:11], a[100:101], a[28:29], v[8:11]// 0000000050A8: D3F30008 1C223964
	v_mfma_f32_16x16x32_fp8_fp8 v[8:11], a[102:103], a[30:31], v[8:11]// 0000000050B0: D3F30008 1C223D66
	ds_read_b128 a[16:19], v2 offset:7296                      // 0000000050B8: DBFE1C80 10000002
	ds_read_b128 a[20:23], v2 offset:7360                      // 0000000050C0: DBFE1CC0 14000002
	v_fma_f32 v112, v12, v4, v112                              // 0000000050C8: D1CB0070 05C2090C
	v_fma_f32 v113, v13, v4, v113                              // 0000000050D0: D1CB0071 05C6090D
	v_fma_f32 v114, v14, v4, v114                              // 0000000050D8: D1CB0072 05CA090E
	v_fma_f32 v115, v15, v4, v115                              // 0000000050E0: D1CB0073 05CE090F
	v_mfma_f32_16x16x32_fp8_fp8 v[12:15], a[104:105], a[24:25], 0// 0000000050E8: D3F3000C 1A023168
	v_mfma_f32_16x16x32_fp8_fp8 v[12:15], a[106:107], a[26:27], v[12:15]// 0000000050F0: D3F3000C 1C32356A
	buffer_load_dwordx4 a[60:63], v49, s[84:87], 0 offen offset:1024// 0000000050F8: E05C1400 80953C31
	v_mfma_f32_16x16x32_fp8_fp8 v[12:15], a[108:109], a[28:29], v[12:15]// 000000005100: D3F3000C 1C32396C
	v_mfma_f32_16x16x32_fp8_fp8 v[12:15], a[110:111], a[30:31], v[12:15]// 000000005108: D3F3000C 1C323D6E
	v_fma_f32 v124, v8, v6, v124                               // 000000005110: D1CB007C 05F20D08
	v_fma_f32 v125, v9, v6, v125                               // 000000005118: D1CB007D 05F60D09
	v_fma_f32 v126, v10, v6, v126                              // 000000005120: D1CB007E 05FA0D0A
	v_fma_f32 v127, v11, v6, v127                              // 000000005128: D1CB007F 05FE0D0B
	v_mul_f32_dpp v4, v27, v34 row_newbcast:0 row_mask:0xf bank_mask:0xf// 000000005130: 0A0844FA FF01501B
	v_mfma_f32_16x16x32_fp8_fp8 v[8:11], a[80:81], a[32:33], 0 // 000000005138: D3F30008 1A024150
	v_mfma_f32_16x16x32_fp8_fp8 v[8:11], a[82:83], a[34:35], v[8:11]// 000000005140: D3F30008 1C224552
	buffer_load_dwordx4 a[64:67], v50, s[84:87], 0 offen       // 000000005148: E05C1000 80954032
	v_mfma_f32_16x16x32_fp8_fp8 v[8:11], a[84:85], a[36:37], v[8:11]// 000000005150: D3F30008 1C224954
	v_mfma_f32_16x16x32_fp8_fp8 v[8:11], a[86:87], a[38:39], v[8:11]// 000000005158: D3F30008 1C224D56
	v_fma_f32 v136, v12, v6, v136                              // 000000005160: D1CB0088 06220D0C
	v_fma_f32 v137, v13, v6, v137                              // 000000005168: D1CB0089 06260D0D
	v_fma_f32 v138, v14, v6, v138                              // 000000005170: D1CB008A 062A0D0E
	v_fma_f32 v139, v15, v6, v139                              // 000000005178: D1CB008B 062E0D0F
	v_mfma_f32_16x16x32_fp8_fp8 v[12:15], a[88:89], a[32:33], 0// 000000005180: D3F3000C 1A024158
	v_mfma_f32_16x16x32_fp8_fp8 v[12:15], a[90:91], a[34:35], v[12:15]// 000000005188: D3F3000C 1C32455A
	buffer_load_dwordx4 a[68:71], v50, s[84:87], 0 offen offset:1024// 000000005190: E05C1400 80954432
	v_mfma_f32_16x16x32_fp8_fp8 v[12:15], a[92:93], a[36:37], v[12:15]// 000000005198: D3F3000C 1C32495C
	v_mfma_f32_16x16x32_fp8_fp8 v[12:15], a[94:95], a[38:39], v[12:15]// 0000000051A0: D3F3000C 1C324D5E
	v_fma_f32 v104, v8, v4, v104                               // 0000000051A8: D1CB0068 05A20908
	v_fma_f32 v105, v9, v4, v105                               // 0000000051B0: D1CB0069 05A60909
	v_fma_f32 v106, v10, v4, v106                              // 0000000051B8: D1CB006A 05AA090A
	v_fma_f32 v107, v11, v4, v107                              // 0000000051C0: D1CB006B 05AE090B
	v_mul_f32_dpp v6, v27, v34 row_newbcast:1 row_mask:0xf bank_mask:0xf// 0000000051C8: 0A0C44FA FF01511B
	v_mfma_f32_16x16x32_fp8_fp8 v[8:11], a[96:97], a[32:33], 0 // 0000000051D0: D3F30008 1A024160
	v_mfma_f32_16x16x32_fp8_fp8 v[8:11], a[98:99], a[34:35], v[8:11]// 0000000051D8: D3F30008 1C224562
	buffer_load_dwordx4 a[72:75], v51, s[84:87], 0 offen       // 0000000051E0: E05C1000 80954833
	v_mfma_f32_16x16x32_fp8_fp8 v[8:11], a[100:101], a[36:37], v[8:11]// 0000000051E8: D3F30008 1C224964
	v_mfma_f32_16x16x32_fp8_fp8 v[8:11], a[102:103], a[38:39], v[8:11]// 0000000051F0: D3F30008 1C224D66
	v_fma_f32 v116, v12, v4, v116                              // 0000000051F8: D1CB0074 05D2090C
	v_fma_f32 v117, v13, v4, v117                              // 000000005200: D1CB0075 05D6090D
	v_fma_f32 v118, v14, v4, v118                              // 000000005208: D1CB0076 05DA090E
	v_fma_f32 v119, v15, v4, v119                              // 000000005210: D1CB0077 05DE090F
	v_mfma_f32_16x16x32_fp8_fp8 v[12:15], a[104:105], a[32:33], 0// 000000005218: D3F3000C 1A024168
	v_mfma_f32_16x16x32_fp8_fp8 v[12:15], a[106:107], a[34:35], v[12:15]// 000000005220: D3F3000C 1C32456A
	buffer_load_dwordx4 a[76:79], v51, s[84:87], 0 offen offset:1024// 000000005228: E05C1400 80954C33
	v_mfma_f32_16x16x32_fp8_fp8 v[12:15], a[108:109], a[36:37], v[12:15]// 000000005230: D3F3000C 1C32496C
	v_mfma_f32_16x16x32_fp8_fp8 v[12:15], a[110:111], a[38:39], v[12:15]// 000000005238: D3F3000C 1C324D6E
	v_fma_f32 v128, v8, v6, v128                               // 000000005240: D1CB0080 06020D08
	v_fma_f32 v129, v9, v6, v129                               // 000000005248: D1CB0081 06060D09
	v_fma_f32 v130, v10, v6, v130                              // 000000005250: D1CB0082 060A0D0A
	v_fma_f32 v131, v11, v6, v131                              // 000000005258: D1CB0083 060E0D0B
	v_mul_f32_dpp v4, v27, v35 row_newbcast:0 row_mask:0xf bank_mask:0xf// 000000005260: 0A0846FA FF01501B
	v_mfma_f32_16x16x32_fp8_fp8 v[8:11], a[80:81], a[40:41], 0 // 000000005268: D3F30008 1A025150
	v_mfma_f32_16x16x32_fp8_fp8 v[8:11], a[82:83], a[42:43], v[8:11]// 000000005270: D3F30008 1C225552
	v_mfma_f32_16x16x32_fp8_fp8 v[8:11], a[84:85], a[44:45], v[8:11]// 000000005278: D3F30008 1C225954
	v_mfma_f32_16x16x32_fp8_fp8 v[8:11], a[86:87], a[46:47], v[8:11]// 000000005280: D3F30008 1C225D56
	v_fma_f32 v140, v12, v6, v140                              // 000000005288: D1CB008C 06320D0C
	v_fma_f32 v141, v13, v6, v141                              // 000000005290: D1CB008D 06360D0D
	v_fma_f32 v142, v14, v6, v142                              // 000000005298: D1CB008E 063A0D0E
	v_fma_f32 v143, v15, v6, v143                              // 0000000052A0: D1CB008F 063E0D0F
	v_mfma_f32_16x16x32_fp8_fp8 v[12:15], a[88:89], a[40:41], 0// 0000000052A8: D3F3000C 1A025158
	v_mfma_f32_16x16x32_fp8_fp8 v[12:15], a[90:91], a[42:43], v[12:15]// 0000000052B0: D3F3000C 1C32555A
	v_mfma_f32_16x16x32_fp8_fp8 v[12:15], a[92:93], a[44:45], v[12:15]// 0000000052B8: D3F3000C 1C32595C
	v_mfma_f32_16x16x32_fp8_fp8 v[12:15], a[94:95], a[46:47], v[12:15]// 0000000052C0: D3F3000C 1C325D5E
	v_fma_f32 v108, v8, v4, v108                               // 0000000052C8: D1CB006C 05B20908
	v_fma_f32 v109, v9, v4, v109                               // 0000000052D0: D1CB006D 05B60909
	v_fma_f32 v110, v10, v4, v110                              // 0000000052D8: D1CB006E 05BA090A
	v_fma_f32 v111, v11, v4, v111                              // 0000000052E0: D1CB006F 05BE090B
	v_mul_f32_dpp v6, v27, v35 row_newbcast:1 row_mask:0xf bank_mask:0xf// 0000000052E8: 0A0C46FA FF01511B
	v_mfma_f32_16x16x32_fp8_fp8 v[8:11], a[96:97], a[40:41], 0 // 0000000052F0: D3F30008 1A025160
	s_add_u32 s60, 0x180, s80                                  // 0000000052F8: 803C50FF 00000180
	s_cmp_lt_u32 s60, s81                                      // 000000005300: BF0A513C
	s_cselect_b32 s57, s57, 0                                  // 000000005304: 85398039
	s_cselect_b32 s3, s3, 0                                    // 000000005308: 85038003
	v_mfma_f32_16x16x32_fp8_fp8 v[8:11], a[98:99], a[42:43], v[8:11]// 00000000530C: D3F30008 1C225562
	s_add_u32 s60, 0x100, s80                                  // 000000005314: 803C50FF 00000100
	s_cmp_lt_u32 s60, s81                                      // 00000000531C: BF0A513C
	s_cselect_b32 s58, s58, 0                                  // 000000005320: 853A803A
	v_mfma_f32_16x16x32_fp8_fp8 v[8:11], a[100:101], a[44:45], v[8:11]// 000000005324: D3F30008 1C225964
	s_add_u32 s60, 0x100, s80                                  // 00000000532C: 803C50FF 00000100
	s_cmp_lt_u32 s60, s81                                      // 000000005334: BF0A513C
	s_cselect_b32 s83, s83, 0                                  // 000000005338: 85538053
	s_cselect_b32 s4, s4, 0                                    // 00000000533C: 85048004
	v_mfma_f32_16x16x32_fp8_fp8 v[8:11], a[102:103], a[46:47], v[8:11]// 000000005340: D3F30008 1C225D66
	s_add_u32 s24, s58, s24                                    // 000000005348: 8018183A
	s_addc_u32 s25, 0, s25                                     // 00000000534C: 82191980
	v_fma_f32 v120, v12, v4, v120                              // 000000005350: D1CB0078 05E2090C
	v_fma_f32 v121, v13, v4, v121                              // 000000005358: D1CB0079 05E6090D
	v_fma_f32 v122, v14, v4, v122                              // 000000005360: D1CB007A 05EA090E
	v_fma_f32 v123, v15, v4, v123                              // 000000005368: D1CB007B 05EE090F
	v_mfma_f32_16x16x32_fp8_fp8 v[12:15], a[104:105], a[40:41], 0// 000000005370: D3F3000C 1A025168
	s_add_u32 s20, s57, s20                                    // 000000005378: 80141439
	s_addc_u32 s21, 0, s21                                     // 00000000537C: 82151580
	s_add_u32 s28, s3, s28                                     // 000000005380: 801C1C03
	s_addc_u32 s29, 0, s29                                     // 000000005384: 821D1D80
	v_mfma_f32_16x16x32_fp8_fp8 v[12:15], a[106:107], a[42:43], v[12:15]// 000000005388: D3F3000C 1C32556A
	s_add_u32 s84, s83, s84                                    // 000000005390: 80545453
	s_addc_u32 s85, 0, s85                                     // 000000005394: 82555580
	v_mfma_f32_16x16x32_fp8_fp8 v[12:15], a[108:109], a[44:45], v[12:15]// 000000005398: D3F3000C 1C32596C
	s_add_u32 s32, s4, s32                                     // 0000000053A0: 80202004
	s_addc_u32 s33, 0, s33                                     // 0000000053A4: 82212180
	v_mfma_f32_16x16x32_fp8_fp8 v[12:15], a[110:111], a[46:47], v[12:15]// 0000000053A8: D3F3000C 1C325D6E
	v_fma_f32 v132, v8, v6, v132                               // 0000000053B0: D1CB0084 06120D08
	v_fma_f32 v133, v9, v6, v133                               // 0000000053B8: D1CB0085 06160D09
	v_fma_f32 v134, v10, v6, v134                              // 0000000053C0: D1CB0086 061A0D0A
	v_fma_f32 v135, v11, v6, v135                              // 0000000053C8: D1CB0087 061E0D0B
	v_fma_f32 v144, v12, v6, v144                              // 0000000053D0: D1CB0090 06420D0C
	v_fma_f32 v145, v13, v6, v145                              // 0000000053D8: D1CB0091 06460D0D
	v_fma_f32 v146, v14, v6, v146                              // 0000000053E0: D1CB0092 064A0D0E
	v_fma_f32 v147, v15, v6, v147                              // 0000000053E8: D1CB0093 064E0D0F
	s_addk_i32 s80, 0x80                                       // 0000000053F0: B7500080
	s_cmp_lt_i32 s80, s81                                      // 0000000053F4: BF045150
	s_cbranch_scc0 label_0E86                                  // 0000000053F8: BF840407
	s_waitcnt vmcnt(18) lgkmcnt(0)                             // 0000000053FC: BF8C4072
	v_mul_f32_dpp v4, v25, v36 row_newbcast:0 row_mask:0xf bank_mask:0xf// 000000005400: 0A0848FA FF015019
	v_mfma_f32_16x16x32_fp8_fp8 v[8:11], a[112:113], a[0:1], 0 // 000000005408: D3F30008 1A020170
	buffer_load_dword v26, v22, s[32:35], 0 offen              // 000000005410: E0501000 80081A16
	v_mfma_f32_16x16x32_fp8_fp8 v[8:11], a[114:115], a[2:3], v[8:11]// 000000005418: D3F30008 1C220572
	buffer_load_dwordx4 a[80:83], v48, s[24:27], 0 offen       // 000000005420: E05C1000 80865030
	v_mfma_f32_16x16x32_fp8_fp8 v[8:11], a[116:117], a[4:5], v[8:11]// 000000005428: D3F30008 1C220974
	v_mfma_f32_16x16x32_fp8_fp8 v[8:11], a[118:119], a[6:7], v[8:11]// 000000005430: D3F30008 1C220D76
	v_mfma_f32_16x16x32_fp8_fp8 v[12:15], a[120:121], a[0:1], 0// 000000005438: D3F3000C 1A020178
	v_mfma_f32_16x16x32_fp8_fp8 v[12:15], a[122:123], a[2:3], v[12:15]// 000000005440: D3F3000C 1C32057A
	buffer_load_dwordx4 a[84:87], v48, s[24:27], 0 offen offset:1024// 000000005448: E05C1400 80865430
	v_mfma_f32_16x16x32_fp8_fp8 v[12:15], a[124:125], a[4:5], v[12:15]// 000000005450: D3F3000C 1C32097C
	v_mfma_f32_16x16x32_fp8_fp8 v[12:15], a[126:127], a[6:7], v[12:15]// 000000005458: D3F3000C 1C320D7E
	v_fma_f32 v52, v8, v4, v52                                 // 000000005460: D1CB0034 04D20908
	v_fma_f32 v53, v9, v4, v53                                 // 000000005468: D1CB0035 04D60909
	v_fma_f32 v54, v10, v4, v54                                // 000000005470: D1CB0036 04DA090A
	v_fma_f32 v55, v11, v4, v55                                // 000000005478: D1CB0037 04DE090B
	v_mul_f32_dpp v6, v25, v36 row_newbcast:1 row_mask:0xf bank_mask:0xf// 000000005480: 0A0C48FA FF015119
	v_mfma_f32_16x16x32_fp8_fp8 v[8:11], a[128:129], a[0:1], 0 // 000000005488: D3F30008 1A020180
	v_mfma_f32_16x16x32_fp8_fp8 v[8:11], a[130:131], a[2:3], v[8:11]// 000000005490: D3F30008 1C220582
	buffer_load_dwordx4 a[88:91], v49, s[24:27], 0 offen       // 000000005498: E05C1000 80865831
	v_mfma_f32_16x16x32_fp8_fp8 v[8:11], a[132:133], a[4:5], v[8:11]// 0000000054A0: D3F30008 1C220984
	v_mfma_f32_16x16x32_fp8_fp8 v[8:11], a[134:135], a[6:7], v[8:11]// 0000000054A8: D3F30008 1C220D86
	v_fma_f32 v64, v12, v4, v64                                // 0000000054B0: D1CB0040 0502090C
	v_fma_f32 v65, v13, v4, v65                                // 0000000054B8: D1CB0041 0506090D
	v_fma_f32 v66, v14, v4, v66                                // 0000000054C0: D1CB0042 050A090E
	v_fma_f32 v67, v15, v4, v67                                // 0000000054C8: D1CB0043 050E090F
	v_mfma_f32_16x16x32_fp8_fp8 v[12:15], a[136:137], a[0:1], 0// 0000000054D0: D3F3000C 1A020188
	v_mfma_f32_16x16x32_fp8_fp8 v[12:15], a[138:139], a[2:3], v[12:15]// 0000000054D8: D3F3000C 1C32058A
	buffer_load_dwordx4 a[92:95], v49, s[24:27], 0 offen offset:1024// 0000000054E0: E05C1400 80865C31
	v_mfma_f32_16x16x32_fp8_fp8 v[12:15], a[140:141], a[4:5], v[12:15]// 0000000054E8: D3F3000C 1C32098C
	v_mfma_f32_16x16x32_fp8_fp8 v[12:15], a[142:143], a[6:7], v[12:15]// 0000000054F0: D3F3000C 1C320D8E
	v_fma_f32 v76, v8, v6, v76                                 // 0000000054F8: D1CB004C 05320D08
	v_fma_f32 v77, v9, v6, v77                                 // 000000005500: D1CB004D 05360D09
	v_fma_f32 v78, v10, v6, v78                                // 000000005508: D1CB004E 053A0D0A
	v_fma_f32 v79, v11, v6, v79                                // 000000005510: D1CB004F 053E0D0B
	v_mul_f32_dpp v4, v25, v37 row_newbcast:0 row_mask:0xf bank_mask:0xf// 000000005518: 0A084AFA FF015019
	v_mfma_f32_16x16x32_fp8_fp8 v[8:11], a[112:113], a[8:9], 0 // 000000005520: D3F30008 1A021170
	v_mfma_f32_16x16x32_fp8_fp8 v[8:11], a[114:115], a[10:11], v[8:11]// 000000005528: D3F30008 1C221572
	buffer_load_dwordx4 a[96:99], v50, s[24:27], 0 offen       // 000000005530: E05C1000 80866032
	v_mfma_f32_16x16x32_fp8_fp8 v[8:11], a[116:117], a[12:13], v[8:11]// 000000005538: D3F30008 1C221974
	v_mfma_f32_16x16x32_fp8_fp8 v[8:11], a[118:119], a[14:15], v[8:11]// 000000005540: D3F30008 1C221D76
	v_fma_f32 v88, v12, v6, v88                                // 000000005548: D1CB0058 05620D0C
	v_fma_f32 v89, v13, v6, v89                                // 000000005550: D1CB0059 05660D0D
	v_fma_f32 v90, v14, v6, v90                                // 000000005558: D1CB005A 056A0D0E
	v_fma_f32 v91, v15, v6, v91                                // 000000005560: D1CB005B 056E0D0F
	v_mfma_f32_16x16x32_fp8_fp8 v[12:15], a[120:121], a[8:9], 0// 000000005568: D3F3000C 1A021178
	v_mfma_f32_16x16x32_fp8_fp8 v[12:15], a[122:123], a[10:11], v[12:15]// 000000005570: D3F3000C 1C32157A
	buffer_load_dwordx4 a[100:103], v50, s[24:27], 0 offen offset:1024// 000000005578: E05C1400 80866432
	v_mfma_f32_16x16x32_fp8_fp8 v[12:15], a[124:125], a[12:13], v[12:15]// 000000005580: D3F3000C 1C32197C
	v_mfma_f32_16x16x32_fp8_fp8 v[12:15], a[126:127], a[14:15], v[12:15]// 000000005588: D3F3000C 1C321D7E
	v_fma_f32 v56, v8, v4, v56                                 // 000000005590: D1CB0038 04E20908
	v_fma_f32 v57, v9, v4, v57                                 // 000000005598: D1CB0039 04E60909
	v_fma_f32 v58, v10, v4, v58                                // 0000000055A0: D1CB003A 04EA090A
	v_fma_f32 v59, v11, v4, v59                                // 0000000055A8: D1CB003B 04EE090B
	v_mul_f32_dpp v6, v25, v37 row_newbcast:1 row_mask:0xf bank_mask:0xf// 0000000055B0: 0A0C4AFA FF015119
	v_mfma_f32_16x16x32_fp8_fp8 v[8:11], a[128:129], a[8:9], 0 // 0000000055B8: D3F30008 1A021180
	v_mfma_f32_16x16x32_fp8_fp8 v[8:11], a[130:131], a[10:11], v[8:11]// 0000000055C0: D3F30008 1C221582
	buffer_load_dwordx4 a[104:107], v51, s[24:27], 0 offen     // 0000000055C8: E05C1000 80866833
	v_mfma_f32_16x16x32_fp8_fp8 v[8:11], a[132:133], a[12:13], v[8:11]// 0000000055D0: D3F30008 1C221984
	v_mfma_f32_16x16x32_fp8_fp8 v[8:11], a[134:135], a[14:15], v[8:11]// 0000000055D8: D3F30008 1C221D86
	v_fma_f32 v68, v12, v4, v68                                // 0000000055E0: D1CB0044 0512090C
	v_fma_f32 v69, v13, v4, v69                                // 0000000055E8: D1CB0045 0516090D
	v_fma_f32 v70, v14, v4, v70                                // 0000000055F0: D1CB0046 051A090E
	v_fma_f32 v71, v15, v4, v71                                // 0000000055F8: D1CB0047 051E090F
	v_mfma_f32_16x16x32_fp8_fp8 v[12:15], a[136:137], a[8:9], 0// 000000005600: D3F3000C 1A021188
	v_mfma_f32_16x16x32_fp8_fp8 v[12:15], a[138:139], a[10:11], v[12:15]// 000000005608: D3F3000C 1C32158A
	buffer_load_dwordx4 a[108:111], v51, s[24:27], 0 offen offset:1024// 000000005610: E05C1400 80866C33
	buffer_load_dword v42, s[20:23], 0 offen lds               // 000000005618: E0511000 8005002A
	s_add_u32 m0, 0x100, s48                                   // 000000005620: 807C30FF 00000100
	v_mfma_f32_16x16x32_fp8_fp8 v[12:15], a[140:141], a[12:13], v[12:15]// 000000005628: D3F3000C 1C32198C
	v_mfma_f32_16x16x32_fp8_fp8 v[12:15], a[142:143], a[14:15], v[12:15]// 000000005630: D3F3000C 1C321D8E
	buffer_load_dword v43, s[20:23], 0 offen lds               // 000000005638: E0511000 8005002B
	s_add_u32 m0, 0x200, s48                                   // 000000005640: 807C30FF 00000200
	v_fma_f32 v80, v8, v6, v80                                 // 000000005648: D1CB0050 05420D08
	v_fma_f32 v81, v9, v6, v81                                 // 000000005650: D1CB0051 05460D09
	v_fma_f32 v82, v10, v6, v82                                // 000000005658: D1CB0052 054A0D0A
	v_fma_f32 v83, v11, v6, v83                                // 000000005660: D1CB0053 054E0D0B
	v_mul_f32_dpp v4, v25, v38 row_newbcast:0 row_mask:0xf bank_mask:0xf// 000000005668: 0A084CFA FF015019
	v_mfma_f32_16x16x32_fp8_fp8 v[8:11], a[112:113], a[16:17], 0// 000000005670: D3F30008 1A022170
	v_mfma_f32_16x16x32_fp8_fp8 v[8:11], a[114:115], a[18:19], v[8:11]// 000000005678: D3F30008 1C222572
	buffer_load_dword v44, s[20:23], 0 offen lds               // 000000005680: E0511000 8005002C
	s_add_u32 m0, 0x300, s48                                   // 000000005688: 807C30FF 00000300
	v_mfma_f32_16x16x32_fp8_fp8 v[8:11], a[116:117], a[20:21], v[8:11]// 000000005690: D3F30008 1C222974
	v_mfma_f32_16x16x32_fp8_fp8 v[8:11], a[118:119], a[22:23], v[8:11]// 000000005698: D3F30008 1C222D76
	buffer_load_dword v45, s[20:23], 0 offen lds               // 0000000056A0: E0511000 8005002D
	s_add_u32 m0, 0x400, s48                                   // 0000000056A8: 807C30FF 00000400
	v_fma_f32 v92, v12, v6, v92                                // 0000000056B0: D1CB005C 05720D0C
	v_fma_f32 v93, v13, v6, v93                                // 0000000056B8: D1CB005D 05760D0D
	v_fma_f32 v94, v14, v6, v94                                // 0000000056C0: D1CB005E 057A0D0E
	v_fma_f32 v95, v15, v6, v95                                // 0000000056C8: D1CB005F 057E0D0F
	v_mfma_f32_16x16x32_fp8_fp8 v[12:15], a[120:121], a[16:17], 0// 0000000056D0: D3F3000C 1A022178
	v_mfma_f32_16x16x32_fp8_fp8 v[12:15], a[122:123], a[18:19], v[12:15]// 0000000056D8: D3F3000C 1C32257A
	buffer_load_dword v46, s[20:23], 0 offen lds               // 0000000056E0: E0511000 8005002E
	s_add_u32 m0, 0x500, s48                                   // 0000000056E8: 807C30FF 00000500
	v_mfma_f32_16x16x32_fp8_fp8 v[12:15], a[124:125], a[20:21], v[12:15]// 0000000056F0: D3F3000C 1C32297C
	v_mfma_f32_16x16x32_fp8_fp8 v[12:15], a[126:127], a[22:23], v[12:15]// 0000000056F8: D3F3000C 1C322D7E
	buffer_load_dword v47, s[20:23], 0 offen lds               // 000000005700: E0511000 8005002F
	s_add_u32 m0, 0, s49                                       // 000000005708: 807C3180
	v_fma_f32 v60, v8, v4, v60                                 // 00000000570C: D1CB003C 04F20908
	v_fma_f32 v61, v9, v4, v61                                 // 000000005714: D1CB003D 04F60909
	v_fma_f32 v62, v10, v4, v62                                // 00000000571C: D1CB003E 04FA090A
	v_fma_f32 v63, v11, v4, v63                                // 000000005724: D1CB003F 04FE090B
	v_mul_f32_dpp v6, v25, v38 row_newbcast:1 row_mask:0xf bank_mask:0xf// 00000000572C: 0A0C4CFA FF015119
	v_mfma_f32_16x16x32_fp8_fp8 v[8:11], a[128:129], a[16:17], 0// 000000005734: D3F30008 1A022180
	v_mfma_f32_16x16x32_fp8_fp8 v[8:11], a[130:131], a[18:19], v[8:11]// 00000000573C: D3F30008 1C222582
	buffer_load_dword v33, v30, s[28:31], 0 offen              // 000000005744: E0501000 8007211E
	v_mfma_f32_16x16x32_fp8_fp8 v[8:11], a[132:133], a[20:21], v[8:11]// 00000000574C: D3F30008 1C222984
	v_mfma_f32_16x16x32_fp8_fp8 v[8:11], a[134:135], a[22:23], v[8:11]// 000000005754: D3F30008 1C222D86
	buffer_load_dword v34, v31, s[28:31], 0 offen              // 00000000575C: E0501000 8007221F
	v_fma_f32 v72, v12, v4, v72                                // 000000005764: D1CB0048 0522090C
	v_fma_f32 v73, v13, v4, v73                                // 00000000576C: D1CB0049 0526090D
	v_fma_f32 v74, v14, v4, v74                                // 000000005774: D1CB004A 052A090E
	v_fma_f32 v75, v15, v4, v75                                // 00000000577C: D1CB004B 052E090F
	v_mfma_f32_16x16x32_fp8_fp8 v[12:15], a[136:137], a[16:17], 0// 000000005784: D3F3000C 1A022188
	v_mfma_f32_16x16x32_fp8_fp8 v[12:15], a[138:139], a[18:19], v[12:15]// 00000000578C: D3F3000C 1C32258A
	buffer_load_dword v35, v32, s[28:31], 0 offen              // 000000005794: E0501000 80072320
	v_mfma_f32_16x16x32_fp8_fp8 v[12:15], a[140:141], a[20:21], v[12:15]// 00000000579C: D3F3000C 1C32298C
	v_mfma_f32_16x16x32_fp8_fp8 v[12:15], a[142:143], a[22:23], v[12:15]// 0000000057A4: D3F3000C 1C322D8E
	v_fma_f32 v84, v8, v6, v84                                 // 0000000057AC: D1CB0054 05520D08
	v_fma_f32 v85, v9, v6, v85                                 // 0000000057B4: D1CB0055 05560D09
	v_fma_f32 v86, v10, v6, v86                                // 0000000057BC: D1CB0056 055A0D0A
	v_fma_f32 v87, v11, v6, v87                                // 0000000057C4: D1CB0057 055E0D0B
	v_fma_f32 v96, v12, v6, v96                                // 0000000057CC: D1CB0060 05820D0C
	v_fma_f32 v97, v13, v6, v97                                // 0000000057D4: D1CB0061 05860D0D
	v_fma_f32 v98, v14, v6, v98                                // 0000000057DC: D1CB0062 058A0D0E
	v_fma_f32 v99, v15, v6, v99                                // 0000000057E4: D1CB0063 058E0D0F
	s_waitcnt vmcnt(18)                                        // 0000000057EC: BF8C4F72
	s_barrier                                                  // 0000000057F0: BF8A0000
	v_mul_f32_dpp v4, v28, v36 row_newbcast:0 row_mask:0xf bank_mask:0xf// 0000000057F4: 0A0848FA FF01501C
	v_mfma_f32_16x16x32_fp8_fp8 v[8:11], a[48:49], a[0:1], 0   // 0000000057FC: D3F30008 1A020130
	buffer_load_dword v29, v23, s[32:35], 0 offen              // 000000005804: E0501000 80081D17
	v_mfma_f32_16x16x32_fp8_fp8 v[8:11], a[50:51], a[2:3], v[8:11]// 00000000580C: D3F30008 1C220532
	buffer_load_dwordx4 a[112:115], v48, s[84:87], 0 offen     // 000000005814: E05C1000 80957030
	v_mfma_f32_16x16x32_fp8_fp8 v[8:11], a[52:53], a[4:5], v[8:11]// 00000000581C: D3F30008 1C220934
	v_mfma_f32_16x16x32_fp8_fp8 v[8:11], a[54:55], a[6:7], v[8:11]// 000000005824: D3F30008 1C220D36
	ds_read_b128 a[24:27], v2 offset:12544                     // 00000000582C: DBFE3100 18000002
	ds_read_b128 a[28:31], v2 offset:12608                     // 000000005834: DBFE3140 1C000002
	v_mfma_f32_16x16x32_fp8_fp8 v[12:15], a[56:57], a[0:1], 0  // 00000000583C: D3F3000C 1A020138
	v_mfma_f32_16x16x32_fp8_fp8 v[12:15], a[58:59], a[2:3], v[12:15]// 000000005844: D3F3000C 1C32053A
	buffer_load_dwordx4 a[116:119], v48, s[84:87], 0 offen offset:1024// 00000000584C: E05C1400 80957430
	v_mfma_f32_16x16x32_fp8_fp8 v[12:15], a[60:61], a[4:5], v[12:15]// 000000005854: D3F3000C 1C32093C
	v_mfma_f32_16x16x32_fp8_fp8 v[12:15], a[62:63], a[6:7], v[12:15]// 00000000585C: D3F3000C 1C320D3E
	ds_read_b128 a[32:35], v2 offset:13056                     // 000000005864: DBFE3300 20000002
	ds_read_b128 a[36:39], v2 offset:13120                     // 00000000586C: DBFE3340 24000002
	v_fma_f32 v100, v8, v4, v100                               // 000000005874: D1CB0064 05920908
	v_fma_f32 v101, v9, v4, v101                               // 00000000587C: D1CB0065 05960909
	v_fma_f32 v102, v10, v4, v102                              // 000000005884: D1CB0066 059A090A
	v_fma_f32 v103, v11, v4, v103                              // 00000000588C: D1CB0067 059E090B
	v_mul_f32_dpp v6, v28, v36 row_newbcast:1 row_mask:0xf bank_mask:0xf// 000000005894: 0A0C48FA FF01511C
	v_mfma_f32_16x16x32_fp8_fp8 v[8:11], a[64:65], a[0:1], 0   // 00000000589C: D3F30008 1A020140
	v_mfma_f32_16x16x32_fp8_fp8 v[8:11], a[66:67], a[2:3], v[8:11]// 0000000058A4: D3F30008 1C220542
	buffer_load_dwordx4 a[120:123], v49, s[84:87], 0 offen     // 0000000058AC: E05C1000 80957831
	v_mfma_f32_16x16x32_fp8_fp8 v[8:11], a[68:69], a[4:5], v[8:11]// 0000000058B4: D3F30008 1C220944
	v_mfma_f32_16x16x32_fp8_fp8 v[8:11], a[70:71], a[6:7], v[8:11]// 0000000058BC: D3F30008 1C220D46
	ds_read_b128 a[40:43], v2 offset:13568                     // 0000000058C4: DBFE3500 28000002
	ds_read_b128 a[44:47], v2 offset:13632                     // 0000000058CC: DBFE3540 2C000002
	v_fma_f32 v112, v12, v4, v112                              // 0000000058D4: D1CB0070 05C2090C
	v_fma_f32 v113, v13, v4, v113                              // 0000000058DC: D1CB0071 05C6090D
	v_fma_f32 v114, v14, v4, v114                              // 0000000058E4: D1CB0072 05CA090E
	v_fma_f32 v115, v15, v4, v115                              // 0000000058EC: D1CB0073 05CE090F
	v_mfma_f32_16x16x32_fp8_fp8 v[12:15], a[72:73], a[0:1], 0  // 0000000058F4: D3F3000C 1A020148
	v_mfma_f32_16x16x32_fp8_fp8 v[12:15], a[74:75], a[2:3], v[12:15]// 0000000058FC: D3F3000C 1C32054A
	buffer_load_dwordx4 a[124:127], v49, s[84:87], 0 offen offset:1024// 000000005904: E05C1400 80957C31
	v_mfma_f32_16x16x32_fp8_fp8 v[12:15], a[76:77], a[4:5], v[12:15]// 00000000590C: D3F3000C 1C32094C
	v_mfma_f32_16x16x32_fp8_fp8 v[12:15], a[78:79], a[6:7], v[12:15]// 000000005914: D3F3000C 1C320D4E
	v_fma_f32 v124, v8, v6, v124                               // 00000000591C: D1CB007C 05F20D08
	v_fma_f32 v125, v9, v6, v125                               // 000000005924: D1CB007D 05F60D09
	v_fma_f32 v126, v10, v6, v126                              // 00000000592C: D1CB007E 05FA0D0A
	v_fma_f32 v127, v11, v6, v127                              // 000000005934: D1CB007F 05FE0D0B
	v_mul_f32_dpp v4, v28, v37 row_newbcast:0 row_mask:0xf bank_mask:0xf// 00000000593C: 0A084AFA FF01501C
	v_mfma_f32_16x16x32_fp8_fp8 v[8:11], a[48:49], a[8:9], 0   // 000000005944: D3F30008 1A021130
	v_mfma_f32_16x16x32_fp8_fp8 v[8:11], a[50:51], a[10:11], v[8:11]// 00000000594C: D3F30008 1C221532
	buffer_load_dwordx4 a[128:131], v50, s[84:87], 0 offen     // 000000005954: E05C1000 80958032
	v_mfma_f32_16x16x32_fp8_fp8 v[8:11], a[52:53], a[12:13], v[8:11]// 00000000595C: D3F30008 1C221934
	v_mfma_f32_16x16x32_fp8_fp8 v[8:11], a[54:55], a[14:15], v[8:11]// 000000005964: D3F30008 1C221D36
	v_fma_f32 v136, v12, v6, v136                              // 00000000596C: D1CB0088 06220D0C
	v_fma_f32 v137, v13, v6, v137                              // 000000005974: D1CB0089 06260D0D
	v_fma_f32 v138, v14, v6, v138                              // 00000000597C: D1CB008A 062A0D0E
	v_fma_f32 v139, v15, v6, v139                              // 000000005984: D1CB008B 062E0D0F
	v_mfma_f32_16x16x32_fp8_fp8 v[12:15], a[56:57], a[8:9], 0  // 00000000598C: D3F3000C 1A021138
	v_mfma_f32_16x16x32_fp8_fp8 v[12:15], a[58:59], a[10:11], v[12:15]// 000000005994: D3F3000C 1C32153A
	buffer_load_dwordx4 a[132:135], v50, s[84:87], 0 offen offset:1024// 00000000599C: E05C1400 80958432
	v_mfma_f32_16x16x32_fp8_fp8 v[12:15], a[60:61], a[12:13], v[12:15]// 0000000059A4: D3F3000C 1C32193C
	v_mfma_f32_16x16x32_fp8_fp8 v[12:15], a[62:63], a[14:15], v[12:15]// 0000000059AC: D3F3000C 1C321D3E
	v_fma_f32 v104, v8, v4, v104                               // 0000000059B4: D1CB0068 05A20908
	v_fma_f32 v105, v9, v4, v105                               // 0000000059BC: D1CB0069 05A60909
	v_fma_f32 v106, v10, v4, v106                              // 0000000059C4: D1CB006A 05AA090A
	v_fma_f32 v107, v11, v4, v107                              // 0000000059CC: D1CB006B 05AE090B
	v_mul_f32_dpp v6, v28, v37 row_newbcast:1 row_mask:0xf bank_mask:0xf// 0000000059D4: 0A0C4AFA FF01511C
	v_mfma_f32_16x16x32_fp8_fp8 v[8:11], a[64:65], a[8:9], 0   // 0000000059DC: D3F30008 1A021140
	v_mfma_f32_16x16x32_fp8_fp8 v[8:11], a[66:67], a[10:11], v[8:11]// 0000000059E4: D3F30008 1C221542
	buffer_load_dwordx4 a[136:139], v51, s[84:87], 0 offen     // 0000000059EC: E05C1000 80958833
	v_mfma_f32_16x16x32_fp8_fp8 v[8:11], a[68:69], a[12:13], v[8:11]// 0000000059F4: D3F30008 1C221944
	v_mfma_f32_16x16x32_fp8_fp8 v[8:11], a[70:71], a[14:15], v[8:11]// 0000000059FC: D3F30008 1C221D46
	v_fma_f32 v116, v12, v4, v116                              // 000000005A04: D1CB0074 05D2090C
	v_fma_f32 v117, v13, v4, v117                              // 000000005A0C: D1CB0075 05D6090D
	v_fma_f32 v118, v14, v4, v118                              // 000000005A14: D1CB0076 05DA090E
	v_fma_f32 v119, v15, v4, v119                              // 000000005A1C: D1CB0077 05DE090F
	v_mfma_f32_16x16x32_fp8_fp8 v[12:15], a[72:73], a[8:9], 0  // 000000005A24: D3F3000C 1A021148
	v_mfma_f32_16x16x32_fp8_fp8 v[12:15], a[74:75], a[10:11], v[12:15]// 000000005A2C: D3F3000C 1C32154A
	buffer_load_dwordx4 a[140:143], v51, s[84:87], 0 offen offset:1024// 000000005A34: E05C1400 80958C33
	v_mfma_f32_16x16x32_fp8_fp8 v[12:15], a[76:77], a[12:13], v[12:15]// 000000005A3C: D3F3000C 1C32194C
	v_mfma_f32_16x16x32_fp8_fp8 v[12:15], a[78:79], a[14:15], v[12:15]// 000000005A44: D3F3000C 1C321D4E
	v_fma_f32 v128, v8, v6, v128                               // 000000005A4C: D1CB0080 06020D08
	v_fma_f32 v129, v9, v6, v129                               // 000000005A54: D1CB0081 06060D09
	v_fma_f32 v130, v10, v6, v130                              // 000000005A5C: D1CB0082 060A0D0A
	v_fma_f32 v131, v11, v6, v131                              // 000000005A64: D1CB0083 060E0D0B
	v_mul_f32_dpp v4, v28, v38 row_newbcast:0 row_mask:0xf bank_mask:0xf// 000000005A6C: 0A084CFA FF01501C
	v_mfma_f32_16x16x32_fp8_fp8 v[8:11], a[48:49], a[16:17], 0 // 000000005A74: D3F30008 1A022130
	v_mfma_f32_16x16x32_fp8_fp8 v[8:11], a[50:51], a[18:19], v[8:11]// 000000005A7C: D3F30008 1C222532
	v_mfma_f32_16x16x32_fp8_fp8 v[8:11], a[52:53], a[20:21], v[8:11]// 000000005A84: D3F30008 1C222934
	v_mfma_f32_16x16x32_fp8_fp8 v[8:11], a[54:55], a[22:23], v[8:11]// 000000005A8C: D3F30008 1C222D36
	v_fma_f32 v140, v12, v6, v140                              // 000000005A94: D1CB008C 06320D0C
	v_fma_f32 v141, v13, v6, v141                              // 000000005A9C: D1CB008D 06360D0D
	v_fma_f32 v142, v14, v6, v142                              // 000000005AA4: D1CB008E 063A0D0E
	v_fma_f32 v143, v15, v6, v143                              // 000000005AAC: D1CB008F 063E0D0F
	v_mfma_f32_16x16x32_fp8_fp8 v[12:15], a[56:57], a[16:17], 0// 000000005AB4: D3F3000C 1A022138
	v_mfma_f32_16x16x32_fp8_fp8 v[12:15], a[58:59], a[18:19], v[12:15]// 000000005ABC: D3F3000C 1C32253A
	v_mfma_f32_16x16x32_fp8_fp8 v[12:15], a[60:61], a[20:21], v[12:15]// 000000005AC4: D3F3000C 1C32293C
	v_mfma_f32_16x16x32_fp8_fp8 v[12:15], a[62:63], a[22:23], v[12:15]// 000000005ACC: D3F3000C 1C322D3E
	v_fma_f32 v108, v8, v4, v108                               // 000000005AD4: D1CB006C 05B20908
	v_fma_f32 v109, v9, v4, v109                               // 000000005ADC: D1CB006D 05B60909
	v_fma_f32 v110, v10, v4, v110                              // 000000005AE4: D1CB006E 05BA090A
	v_fma_f32 v111, v11, v4, v111                              // 000000005AEC: D1CB006F 05BE090B
	v_mul_f32_dpp v6, v28, v38 row_newbcast:1 row_mask:0xf bank_mask:0xf// 000000005AF4: 0A0C4CFA FF01511C
	v_mfma_f32_16x16x32_fp8_fp8 v[8:11], a[64:65], a[16:17], 0 // 000000005AFC: D3F30008 1A022140
	s_add_u32 s60, 0x180, s80                                  // 000000005B04: 803C50FF 00000180
	s_cmp_lt_u32 s60, s81                                      // 000000005B0C: BF0A513C
	s_cselect_b32 s57, s57, 0                                  // 000000005B10: 85398039
	s_cselect_b32 s3, s3, 0                                    // 000000005B14: 85038003
	v_mfma_f32_16x16x32_fp8_fp8 v[8:11], a[66:67], a[18:19], v[8:11]// 000000005B18: D3F30008 1C222542
	s_add_u32 s60, 0x100, s80                                  // 000000005B20: 803C50FF 00000100
	s_cmp_lt_u32 s60, s81                                      // 000000005B28: BF0A513C
	s_cselect_b32 s58, s58, 0                                  // 000000005B2C: 853A803A
	v_mfma_f32_16x16x32_fp8_fp8 v[8:11], a[68:69], a[20:21], v[8:11]// 000000005B30: D3F30008 1C222944
	s_add_u32 s60, 0x100, s80                                  // 000000005B38: 803C50FF 00000100
	s_cmp_lt_u32 s60, s81                                      // 000000005B40: BF0A513C
	s_cselect_b32 s83, s83, 0                                  // 000000005B44: 85538053
	s_cselect_b32 s4, s4, 0                                    // 000000005B48: 85048004
	v_mfma_f32_16x16x32_fp8_fp8 v[8:11], a[70:71], a[22:23], v[8:11]// 000000005B4C: D3F30008 1C222D46
	s_add_u32 s24, s58, s24                                    // 000000005B54: 8018183A
	s_addc_u32 s25, 0, s25                                     // 000000005B58: 82191980
	v_fma_f32 v120, v12, v4, v120                              // 000000005B5C: D1CB0078 05E2090C
	v_fma_f32 v121, v13, v4, v121                              // 000000005B64: D1CB0079 05E6090D
	v_fma_f32 v122, v14, v4, v122                              // 000000005B6C: D1CB007A 05EA090E
	v_fma_f32 v123, v15, v4, v123                              // 000000005B74: D1CB007B 05EE090F
	v_mfma_f32_16x16x32_fp8_fp8 v[12:15], a[72:73], a[16:17], 0// 000000005B7C: D3F3000C 1A022148
	s_add_u32 s20, s57, s20                                    // 000000005B84: 80141439
	s_addc_u32 s21, 0, s21                                     // 000000005B88: 82151580
	s_add_u32 s28, s3, s28                                     // 000000005B8C: 801C1C03
	s_addc_u32 s29, 0, s29                                     // 000000005B90: 821D1D80
	v_mfma_f32_16x16x32_fp8_fp8 v[12:15], a[74:75], a[18:19], v[12:15]// 000000005B94: D3F3000C 1C32254A
	s_add_u32 s84, s83, s84                                    // 000000005B9C: 80545453
	s_addc_u32 s85, 0, s85                                     // 000000005BA0: 82555580
	v_mfma_f32_16x16x32_fp8_fp8 v[12:15], a[76:77], a[20:21], v[12:15]// 000000005BA4: D3F3000C 1C32294C
	s_add_u32 s32, s4, s32                                     // 000000005BAC: 80202004
	s_addc_u32 s33, 0, s33                                     // 000000005BB0: 82212180
	v_mfma_f32_16x16x32_fp8_fp8 v[12:15], a[78:79], a[22:23], v[12:15]// 000000005BB4: D3F3000C 1C322D4E
	v_fma_f32 v132, v8, v6, v132                               // 000000005BBC: D1CB0084 06120D08
	v_fma_f32 v133, v9, v6, v133                               // 000000005BC4: D1CB0085 06160D09
	v_fma_f32 v134, v10, v6, v134                              // 000000005BCC: D1CB0086 061A0D0A
	v_fma_f32 v135, v11, v6, v135                              // 000000005BD4: D1CB0087 061E0D0B
	v_fma_f32 v144, v12, v6, v144                              // 000000005BDC: D1CB0090 06420D0C
	v_fma_f32 v145, v13, v6, v145                              // 000000005BE4: D1CB0091 06460D0D
	v_fma_f32 v146, v14, v6, v146                              // 000000005BEC: D1CB0092 064A0D0E
	v_fma_f32 v147, v15, v6, v147                              // 000000005BF4: D1CB0093 064E0D0F
	s_addk_i32 s80, 0x80                                       // 000000005BFC: B7500080
	s_cmp_lt_i32 s80, s81                                      // 000000005C00: BF045150
	s_cbranch_scc0 label_0E86                                  // 000000005C04: BF840204
	s_waitcnt vmcnt(18) lgkmcnt(0)                             // 000000005C08: BF8C4072
	v_mul_f32_dpp v4, v26, v39 row_newbcast:0 row_mask:0xf bank_mask:0xf// 000000005C0C: 0A084EFA FF01501A
	v_mfma_f32_16x16x32_fp8_fp8 v[8:11], a[80:81], a[24:25], 0 // 000000005C14: D3F30008 1A023150
	buffer_load_dword v24, v22, s[32:35], 0 offen              // 000000005C1C: E0501000 80081816
	v_mfma_f32_16x16x32_fp8_fp8 v[8:11], a[82:83], a[26:27], v[8:11]// 000000005C24: D3F30008 1C223552
	buffer_load_dwordx4 a[48:51], v48, s[24:27], 0 offen       // 000000005C2C: E05C1000 80863030
	v_mfma_f32_16x16x32_fp8_fp8 v[8:11], a[84:85], a[28:29], v[8:11]// 000000005C34: D3F30008 1C223954
	v_mfma_f32_16x16x32_fp8_fp8 v[8:11], a[86:87], a[30:31], v[8:11]// 000000005C3C: D3F30008 1C223D56
	v_mfma_f32_16x16x32_fp8_fp8 v[12:15], a[88:89], a[24:25], 0// 000000005C44: D3F3000C 1A023158
	v_mfma_f32_16x16x32_fp8_fp8 v[12:15], a[90:91], a[26:27], v[12:15]// 000000005C4C: D3F3000C 1C32355A
	buffer_load_dwordx4 a[52:55], v48, s[24:27], 0 offen offset:1024// 000000005C54: E05C1400 80863430
	v_mfma_f32_16x16x32_fp8_fp8 v[12:15], a[92:93], a[28:29], v[12:15]// 000000005C5C: D3F3000C 1C32395C
	v_mfma_f32_16x16x32_fp8_fp8 v[12:15], a[94:95], a[30:31], v[12:15]// 000000005C64: D3F3000C 1C323D5E
	v_fma_f32 v52, v8, v4, v52                                 // 000000005C6C: D1CB0034 04D20908
	v_fma_f32 v53, v9, v4, v53                                 // 000000005C74: D1CB0035 04D60909
	v_fma_f32 v54, v10, v4, v54                                // 000000005C7C: D1CB0036 04DA090A
	v_fma_f32 v55, v11, v4, v55                                // 000000005C84: D1CB0037 04DE090B
	v_mul_f32_dpp v6, v26, v39 row_newbcast:1 row_mask:0xf bank_mask:0xf// 000000005C8C: 0A0C4EFA FF01511A
	v_mfma_f32_16x16x32_fp8_fp8 v[8:11], a[96:97], a[24:25], 0 // 000000005C94: D3F30008 1A023160
	v_mfma_f32_16x16x32_fp8_fp8 v[8:11], a[98:99], a[26:27], v[8:11]// 000000005C9C: D3F30008 1C223562
	buffer_load_dwordx4 a[56:59], v49, s[24:27], 0 offen       // 000000005CA4: E05C1000 80863831
	v_mfma_f32_16x16x32_fp8_fp8 v[8:11], a[100:101], a[28:29], v[8:11]// 000000005CAC: D3F30008 1C223964
	v_mfma_f32_16x16x32_fp8_fp8 v[8:11], a[102:103], a[30:31], v[8:11]// 000000005CB4: D3F30008 1C223D66
	v_fma_f32 v64, v12, v4, v64                                // 000000005CBC: D1CB0040 0502090C
	v_fma_f32 v65, v13, v4, v65                                // 000000005CC4: D1CB0041 0506090D
	v_fma_f32 v66, v14, v4, v66                                // 000000005CCC: D1CB0042 050A090E
	v_fma_f32 v67, v15, v4, v67                                // 000000005CD4: D1CB0043 050E090F
	v_mfma_f32_16x16x32_fp8_fp8 v[12:15], a[104:105], a[24:25], 0// 000000005CDC: D3F3000C 1A023168
	v_mfma_f32_16x16x32_fp8_fp8 v[12:15], a[106:107], a[26:27], v[12:15]// 000000005CE4: D3F3000C 1C32356A
	buffer_load_dwordx4 a[60:63], v49, s[24:27], 0 offen offset:1024// 000000005CEC: E05C1400 80863C31
	v_mfma_f32_16x16x32_fp8_fp8 v[12:15], a[108:109], a[28:29], v[12:15]// 000000005CF4: D3F3000C 1C32396C
	v_mfma_f32_16x16x32_fp8_fp8 v[12:15], a[110:111], a[30:31], v[12:15]// 000000005CFC: D3F3000C 1C323D6E
	v_fma_f32 v76, v8, v6, v76                                 // 000000005D04: D1CB004C 05320D08
	v_fma_f32 v77, v9, v6, v77                                 // 000000005D0C: D1CB004D 05360D09
	v_fma_f32 v78, v10, v6, v78                                // 000000005D14: D1CB004E 053A0D0A
	v_fma_f32 v79, v11, v6, v79                                // 000000005D1C: D1CB004F 053E0D0B
	v_mul_f32_dpp v4, v26, v40 row_newbcast:0 row_mask:0xf bank_mask:0xf// 000000005D24: 0A0850FA FF01501A
	v_mfma_f32_16x16x32_fp8_fp8 v[8:11], a[80:81], a[32:33], 0 // 000000005D2C: D3F30008 1A024150
	v_mfma_f32_16x16x32_fp8_fp8 v[8:11], a[82:83], a[34:35], v[8:11]// 000000005D34: D3F30008 1C224552
	buffer_load_dwordx4 a[64:67], v50, s[24:27], 0 offen       // 000000005D3C: E05C1000 80864032
	v_mfma_f32_16x16x32_fp8_fp8 v[8:11], a[84:85], a[36:37], v[8:11]// 000000005D44: D3F30008 1C224954
	v_mfma_f32_16x16x32_fp8_fp8 v[8:11], a[86:87], a[38:39], v[8:11]// 000000005D4C: D3F30008 1C224D56
	v_fma_f32 v88, v12, v6, v88                                // 000000005D54: D1CB0058 05620D0C
	v_fma_f32 v89, v13, v6, v89                                // 000000005D5C: D1CB0059 05660D0D
	v_fma_f32 v90, v14, v6, v90                                // 000000005D64: D1CB005A 056A0D0E
	v_fma_f32 v91, v15, v6, v91                                // 000000005D6C: D1CB005B 056E0D0F
	v_mfma_f32_16x16x32_fp8_fp8 v[12:15], a[88:89], a[32:33], 0// 000000005D74: D3F3000C 1A024158
	v_mfma_f32_16x16x32_fp8_fp8 v[12:15], a[90:91], a[34:35], v[12:15]// 000000005D7C: D3F3000C 1C32455A
	buffer_load_dwordx4 a[68:71], v50, s[24:27], 0 offen offset:1024// 000000005D84: E05C1400 80864432
	v_mfma_f32_16x16x32_fp8_fp8 v[12:15], a[92:93], a[36:37], v[12:15]// 000000005D8C: D3F3000C 1C32495C
	v_mfma_f32_16x16x32_fp8_fp8 v[12:15], a[94:95], a[38:39], v[12:15]// 000000005D94: D3F3000C 1C324D5E
	v_fma_f32 v56, v8, v4, v56                                 // 000000005D9C: D1CB0038 04E20908
	v_fma_f32 v57, v9, v4, v57                                 // 000000005DA4: D1CB0039 04E60909
	v_fma_f32 v58, v10, v4, v58                                // 000000005DAC: D1CB003A 04EA090A
	v_fma_f32 v59, v11, v4, v59                                // 000000005DB4: D1CB003B 04EE090B
	v_mul_f32_dpp v6, v26, v40 row_newbcast:1 row_mask:0xf bank_mask:0xf// 000000005DBC: 0A0C50FA FF01511A
	v_mfma_f32_16x16x32_fp8_fp8 v[8:11], a[96:97], a[32:33], 0 // 000000005DC4: D3F30008 1A024160
	v_mfma_f32_16x16x32_fp8_fp8 v[8:11], a[98:99], a[34:35], v[8:11]// 000000005DCC: D3F30008 1C224562
	buffer_load_dwordx4 a[72:75], v51, s[24:27], 0 offen       // 000000005DD4: E05C1000 80864833
	v_mfma_f32_16x16x32_fp8_fp8 v[8:11], a[100:101], a[36:37], v[8:11]// 000000005DDC: D3F30008 1C224964
	v_mfma_f32_16x16x32_fp8_fp8 v[8:11], a[102:103], a[38:39], v[8:11]// 000000005DE4: D3F30008 1C224D66
	v_fma_f32 v68, v12, v4, v68                                // 000000005DEC: D1CB0044 0512090C
	v_fma_f32 v69, v13, v4, v69                                // 000000005DF4: D1CB0045 0516090D
	v_fma_f32 v70, v14, v4, v70                                // 000000005DFC: D1CB0046 051A090E
	v_fma_f32 v71, v15, v4, v71                                // 000000005E04: D1CB0047 051E090F
	v_mfma_f32_16x16x32_fp8_fp8 v[12:15], a[104:105], a[32:33], 0// 000000005E0C: D3F3000C 1A024168
	v_mfma_f32_16x16x32_fp8_fp8 v[12:15], a[106:107], a[34:35], v[12:15]// 000000005E14: D3F3000C 1C32456A
	buffer_load_dwordx4 a[76:79], v51, s[24:27], 0 offen offset:1024// 000000005E1C: E05C1400 80864C33
	buffer_load_dword v42, s[20:23], 0 offen lds               // 000000005E24: E0511000 8005002A
	s_add_u32 m0, 0x100, s49                                   // 000000005E2C: 807C31FF 00000100
	v_mfma_f32_16x16x32_fp8_fp8 v[12:15], a[108:109], a[36:37], v[12:15]// 000000005E34: D3F3000C 1C32496C
	v_mfma_f32_16x16x32_fp8_fp8 v[12:15], a[110:111], a[38:39], v[12:15]// 000000005E3C: D3F3000C 1C324D6E
	buffer_load_dword v43, s[20:23], 0 offen lds               // 000000005E44: E0511000 8005002B
	s_add_u32 m0, 0x200, s49                                   // 000000005E4C: 807C31FF 00000200
	v_fma_f32 v80, v8, v6, v80                                 // 000000005E54: D1CB0050 05420D08
	v_fma_f32 v81, v9, v6, v81                                 // 000000005E5C: D1CB0051 05460D09
	v_fma_f32 v82, v10, v6, v82                                // 000000005E64: D1CB0052 054A0D0A
	v_fma_f32 v83, v11, v6, v83                                // 000000005E6C: D1CB0053 054E0D0B
	v_mul_f32_dpp v4, v26, v41 row_newbcast:0 row_mask:0xf bank_mask:0xf// 000000005E74: 0A0852FA FF01501A
	v_mfma_f32_16x16x32_fp8_fp8 v[8:11], a[80:81], a[40:41], 0 // 000000005E7C: D3F30008 1A025150
	v_mfma_f32_16x16x32_fp8_fp8 v[8:11], a[82:83], a[42:43], v[8:11]// 000000005E84: D3F30008 1C225552
	buffer_load_dword v44, s[20:23], 0 offen lds               // 000000005E8C: E0511000 8005002C
	s_add_u32 m0, 0x300, s49                                   // 000000005E94: 807C31FF 00000300
	v_mfma_f32_16x16x32_fp8_fp8 v[8:11], a[84:85], a[44:45], v[8:11]// 000000005E9C: D3F30008 1C225954
	v_mfma_f32_16x16x32_fp8_fp8 v[8:11], a[86:87], a[46:47], v[8:11]// 000000005EA4: D3F30008 1C225D56
	buffer_load_dword v45, s[20:23], 0 offen lds               // 000000005EAC: E0511000 8005002D
	s_add_u32 m0, 0x400, s49                                   // 000000005EB4: 807C31FF 00000400
	v_fma_f32 v92, v12, v6, v92                                // 000000005EBC: D1CB005C 05720D0C
	v_fma_f32 v93, v13, v6, v93                                // 000000005EC4: D1CB005D 05760D0D
	v_fma_f32 v94, v14, v6, v94                                // 000000005ECC: D1CB005E 057A0D0E
	v_fma_f32 v95, v15, v6, v95                                // 000000005ED4: D1CB005F 057E0D0F
	v_mfma_f32_16x16x32_fp8_fp8 v[12:15], a[88:89], a[40:41], 0// 000000005EDC: D3F3000C 1A025158
	v_mfma_f32_16x16x32_fp8_fp8 v[12:15], a[90:91], a[42:43], v[12:15]// 000000005EE4: D3F3000C 1C32555A
	buffer_load_dword v46, s[20:23], 0 offen lds               // 000000005EEC: E0511000 8005002E
	s_add_u32 m0, 0x500, s49                                   // 000000005EF4: 807C31FF 00000500
	v_mfma_f32_16x16x32_fp8_fp8 v[12:15], a[92:93], a[44:45], v[12:15]// 000000005EFC: D3F3000C 1C32595C
	v_mfma_f32_16x16x32_fp8_fp8 v[12:15], a[94:95], a[46:47], v[12:15]// 000000005F04: D3F3000C 1C325D5E
	buffer_load_dword v47, s[20:23], 0 offen lds               // 000000005F0C: E0511000 8005002F
	s_add_u32 m0, 0, s50                                       // 000000005F14: 807C3280
	v_fma_f32 v60, v8, v4, v60                                 // 000000005F18: D1CB003C 04F20908
	v_fma_f32 v61, v9, v4, v61                                 // 000000005F20: D1CB003D 04F60909
	v_fma_f32 v62, v10, v4, v62                                // 000000005F28: D1CB003E 04FA090A
	v_fma_f32 v63, v11, v4, v63                                // 000000005F30: D1CB003F 04FE090B
	v_mul_f32_dpp v6, v26, v41 row_newbcast:1 row_mask:0xf bank_mask:0xf// 000000005F38: 0A0C52FA FF01511A
	v_mfma_f32_16x16x32_fp8_fp8 v[8:11], a[96:97], a[40:41], 0 // 000000005F40: D3F30008 1A025160
	v_mfma_f32_16x16x32_fp8_fp8 v[8:11], a[98:99], a[42:43], v[8:11]// 000000005F48: D3F30008 1C225562
	buffer_load_dword v36, v30, s[28:31], 0 offen              // 000000005F50: E0501000 8007241E
	v_mfma_f32_16x16x32_fp8_fp8 v[8:11], a[100:101], a[44:45], v[8:11]// 000000005F58: D3F30008 1C225964
	v_mfma_f32_16x16x32_fp8_fp8 v[8:11], a[102:103], a[46:47], v[8:11]// 000000005F60: D3F30008 1C225D66
	buffer_load_dword v37, v31, s[28:31], 0 offen              // 000000005F68: E0501000 8007251F
	v_fma_f32 v72, v12, v4, v72                                // 000000005F70: D1CB0048 0522090C
	v_fma_f32 v73, v13, v4, v73                                // 000000005F78: D1CB0049 0526090D
	v_fma_f32 v74, v14, v4, v74                                // 000000005F80: D1CB004A 052A090E
	v_fma_f32 v75, v15, v4, v75                                // 000000005F88: D1CB004B 052E090F
	v_mfma_f32_16x16x32_fp8_fp8 v[12:15], a[104:105], a[40:41], 0// 000000005F90: D3F3000C 1A025168
	v_mfma_f32_16x16x32_fp8_fp8 v[12:15], a[106:107], a[42:43], v[12:15]// 000000005F98: D3F3000C 1C32556A
	buffer_load_dword v38, v32, s[28:31], 0 offen              // 000000005FA0: E0501000 80072620
	v_mfma_f32_16x16x32_fp8_fp8 v[12:15], a[108:109], a[44:45], v[12:15]// 000000005FA8: D3F3000C 1C32596C
	v_mfma_f32_16x16x32_fp8_fp8 v[12:15], a[110:111], a[46:47], v[12:15]// 000000005FB0: D3F3000C 1C325D6E
	v_fma_f32 v84, v8, v6, v84                                 // 000000005FB8: D1CB0054 05520D08
	v_fma_f32 v85, v9, v6, v85                                 // 000000005FC0: D1CB0055 05560D09
	v_fma_f32 v86, v10, v6, v86                                // 000000005FC8: D1CB0056 055A0D0A
	v_fma_f32 v87, v11, v6, v87                                // 000000005FD0: D1CB0057 055E0D0B
	v_fma_f32 v96, v12, v6, v96                                // 000000005FD8: D1CB0060 05820D0C
	v_fma_f32 v97, v13, v6, v97                                // 000000005FE0: D1CB0061 05860D0D
	v_fma_f32 v98, v14, v6, v98                                // 000000005FE8: D1CB0062 058A0D0E
	v_fma_f32 v99, v15, v6, v99                                // 000000005FF0: D1CB0063 058E0D0F
	s_waitcnt vmcnt(18)                                        // 000000005FF8: BF8C4F72
	s_barrier                                                  // 000000005FFC: BF8A0000
	v_mul_f32_dpp v4, v29, v39 row_newbcast:0 row_mask:0xf bank_mask:0xf// 000000006000: 0A084EFA FF01501D
	v_mfma_f32_16x16x32_fp8_fp8 v[8:11], a[112:113], a[24:25], 0// 000000006008: D3F30008 1A023170
	buffer_load_dword v27, v23, s[32:35], 0 offen              // 000000006010: E0501000 80081B17
	v_mfma_f32_16x16x32_fp8_fp8 v[8:11], a[114:115], a[26:27], v[8:11]// 000000006018: D3F30008 1C223572
	buffer_load_dwordx4 a[80:83], v48, s[84:87], 0 offen       // 000000006020: E05C1000 80955030
	v_mfma_f32_16x16x32_fp8_fp8 v[8:11], a[116:117], a[28:29], v[8:11]// 000000006028: D3F30008 1C223974
	v_mfma_f32_16x16x32_fp8_fp8 v[8:11], a[118:119], a[30:31], v[8:11]// 000000006030: D3F30008 1C223D76
	ds_read_b128 a[0:3], v2                                    // 000000006038: DBFE0000 00000002
	ds_read_b128 a[4:7], v2 offset:64                          // 000000006040: DBFE0040 04000002
	v_mfma_f32_16x16x32_fp8_fp8 v[12:15], a[120:121], a[24:25], 0// 000000006048: D3F3000C 1A023178
	v_mfma_f32_16x16x32_fp8_fp8 v[12:15], a[122:123], a[26:27], v[12:15]// 000000006050: D3F3000C 1C32357A
	buffer_load_dwordx4 a[84:87], v48, s[84:87], 0 offen offset:1024// 000000006058: E05C1400 80955430
	v_mfma_f32_16x16x32_fp8_fp8 v[12:15], a[124:125], a[28:29], v[12:15]// 000000006060: D3F3000C 1C32397C
	v_mfma_f32_16x16x32_fp8_fp8 v[12:15], a[126:127], a[30:31], v[12:15]// 000000006068: D3F3000C 1C323D7E
	ds_read_b128 a[8:11], v2 offset:512                        // 000000006070: DBFE0200 08000002
	ds_read_b128 a[12:15], v2 offset:576                       // 000000006078: DBFE0240 0C000002
	v_fma_f32 v100, v8, v4, v100                               // 000000006080: D1CB0064 05920908
	v_fma_f32 v101, v9, v4, v101                               // 000000006088: D1CB0065 05960909
	v_fma_f32 v102, v10, v4, v102                              // 000000006090: D1CB0066 059A090A
	v_fma_f32 v103, v11, v4, v103                              // 000000006098: D1CB0067 059E090B
	v_mul_f32_dpp v6, v29, v39 row_newbcast:1 row_mask:0xf bank_mask:0xf// 0000000060A0: 0A0C4EFA FF01511D
	v_mfma_f32_16x16x32_fp8_fp8 v[8:11], a[128:129], a[24:25], 0// 0000000060A8: D3F30008 1A023180
	v_mfma_f32_16x16x32_fp8_fp8 v[8:11], a[130:131], a[26:27], v[8:11]// 0000000060B0: D3F30008 1C223582
	buffer_load_dwordx4 a[88:91], v49, s[84:87], 0 offen       // 0000000060B8: E05C1000 80955831
	v_mfma_f32_16x16x32_fp8_fp8 v[8:11], a[132:133], a[28:29], v[8:11]// 0000000060C0: D3F30008 1C223984
	v_mfma_f32_16x16x32_fp8_fp8 v[8:11], a[134:135], a[30:31], v[8:11]// 0000000060C8: D3F30008 1C223D86
	ds_read_b128 a[16:19], v2 offset:1024                      // 0000000060D0: DBFE0400 10000002
	ds_read_b128 a[20:23], v2 offset:1088                      // 0000000060D8: DBFE0440 14000002
	v_fma_f32 v112, v12, v4, v112                              // 0000000060E0: D1CB0070 05C2090C
	v_fma_f32 v113, v13, v4, v113                              // 0000000060E8: D1CB0071 05C6090D
	v_fma_f32 v114, v14, v4, v114                              // 0000000060F0: D1CB0072 05CA090E
	v_fma_f32 v115, v15, v4, v115                              // 0000000060F8: D1CB0073 05CE090F
	v_mfma_f32_16x16x32_fp8_fp8 v[12:15], a[136:137], a[24:25], 0// 000000006100: D3F3000C 1A023188
	v_mfma_f32_16x16x32_fp8_fp8 v[12:15], a[138:139], a[26:27], v[12:15]// 000000006108: D3F3000C 1C32358A
	buffer_load_dwordx4 a[92:95], v49, s[84:87], 0 offen offset:1024// 000000006110: E05C1400 80955C31
	v_mfma_f32_16x16x32_fp8_fp8 v[12:15], a[140:141], a[28:29], v[12:15]// 000000006118: D3F3000C 1C32398C
	v_mfma_f32_16x16x32_fp8_fp8 v[12:15], a[142:143], a[30:31], v[12:15]// 000000006120: D3F3000C 1C323D8E
	v_fma_f32 v124, v8, v6, v124                               // 000000006128: D1CB007C 05F20D08
	v_fma_f32 v125, v9, v6, v125                               // 000000006130: D1CB007D 05F60D09
	v_fma_f32 v126, v10, v6, v126                              // 000000006138: D1CB007E 05FA0D0A
	v_fma_f32 v127, v11, v6, v127                              // 000000006140: D1CB007F 05FE0D0B
	v_mul_f32_dpp v4, v29, v40 row_newbcast:0 row_mask:0xf bank_mask:0xf// 000000006148: 0A0850FA FF01501D
	v_mfma_f32_16x16x32_fp8_fp8 v[8:11], a[112:113], a[32:33], 0// 000000006150: D3F30008 1A024170
	v_mfma_f32_16x16x32_fp8_fp8 v[8:11], a[114:115], a[34:35], v[8:11]// 000000006158: D3F30008 1C224572
	buffer_load_dwordx4 a[96:99], v50, s[84:87], 0 offen       // 000000006160: E05C1000 80956032
	v_mfma_f32_16x16x32_fp8_fp8 v[8:11], a[116:117], a[36:37], v[8:11]// 000000006168: D3F30008 1C224974
	v_mfma_f32_16x16x32_fp8_fp8 v[8:11], a[118:119], a[38:39], v[8:11]// 000000006170: D3F30008 1C224D76
	v_fma_f32 v136, v12, v6, v136                              // 000000006178: D1CB0088 06220D0C
	v_fma_f32 v137, v13, v6, v137                              // 000000006180: D1CB0089 06260D0D
	v_fma_f32 v138, v14, v6, v138                              // 000000006188: D1CB008A 062A0D0E
	v_fma_f32 v139, v15, v6, v139                              // 000000006190: D1CB008B 062E0D0F
	v_mfma_f32_16x16x32_fp8_fp8 v[12:15], a[120:121], a[32:33], 0// 000000006198: D3F3000C 1A024178
	v_mfma_f32_16x16x32_fp8_fp8 v[12:15], a[122:123], a[34:35], v[12:15]// 0000000061A0: D3F3000C 1C32457A
	buffer_load_dwordx4 a[100:103], v50, s[84:87], 0 offen offset:1024// 0000000061A8: E05C1400 80956432
	v_mfma_f32_16x16x32_fp8_fp8 v[12:15], a[124:125], a[36:37], v[12:15]// 0000000061B0: D3F3000C 1C32497C
	v_mfma_f32_16x16x32_fp8_fp8 v[12:15], a[126:127], a[38:39], v[12:15]// 0000000061B8: D3F3000C 1C324D7E
	v_fma_f32 v104, v8, v4, v104                               // 0000000061C0: D1CB0068 05A20908
	v_fma_f32 v105, v9, v4, v105                               // 0000000061C8: D1CB0069 05A60909
	v_fma_f32 v106, v10, v4, v106                              // 0000000061D0: D1CB006A 05AA090A
	v_fma_f32 v107, v11, v4, v107                              // 0000000061D8: D1CB006B 05AE090B
	v_mul_f32_dpp v6, v29, v40 row_newbcast:1 row_mask:0xf bank_mask:0xf// 0000000061E0: 0A0C50FA FF01511D
	v_mfma_f32_16x16x32_fp8_fp8 v[8:11], a[128:129], a[32:33], 0// 0000000061E8: D3F30008 1A024180
	v_mfma_f32_16x16x32_fp8_fp8 v[8:11], a[130:131], a[34:35], v[8:11]// 0000000061F0: D3F30008 1C224582
	buffer_load_dwordx4 a[104:107], v51, s[84:87], 0 offen     // 0000000061F8: E05C1000 80956833
	v_mfma_f32_16x16x32_fp8_fp8 v[8:11], a[132:133], a[36:37], v[8:11]// 000000006200: D3F30008 1C224984
	v_mfma_f32_16x16x32_fp8_fp8 v[8:11], a[134:135], a[38:39], v[8:11]// 000000006208: D3F30008 1C224D86
	v_fma_f32 v116, v12, v4, v116                              // 000000006210: D1CB0074 05D2090C
	v_fma_f32 v117, v13, v4, v117                              // 000000006218: D1CB0075 05D6090D
	v_fma_f32 v118, v14, v4, v118                              // 000000006220: D1CB0076 05DA090E
	v_fma_f32 v119, v15, v4, v119                              // 000000006228: D1CB0077 05DE090F
	v_mfma_f32_16x16x32_fp8_fp8 v[12:15], a[136:137], a[32:33], 0// 000000006230: D3F3000C 1A024188
	v_mfma_f32_16x16x32_fp8_fp8 v[12:15], a[138:139], a[34:35], v[12:15]// 000000006238: D3F3000C 1C32458A
	buffer_load_dwordx4 a[108:111], v51, s[84:87], 0 offen offset:1024// 000000006240: E05C1400 80956C33
	v_mfma_f32_16x16x32_fp8_fp8 v[12:15], a[140:141], a[36:37], v[12:15]// 000000006248: D3F3000C 1C32498C
	v_mfma_f32_16x16x32_fp8_fp8 v[12:15], a[142:143], a[38:39], v[12:15]// 000000006250: D3F3000C 1C324D8E
	v_fma_f32 v128, v8, v6, v128                               // 000000006258: D1CB0080 06020D08
	v_fma_f32 v129, v9, v6, v129                               // 000000006260: D1CB0081 06060D09
	v_fma_f32 v130, v10, v6, v130                              // 000000006268: D1CB0082 060A0D0A
	v_fma_f32 v131, v11, v6, v131                              // 000000006270: D1CB0083 060E0D0B
	v_mul_f32_dpp v4, v29, v41 row_newbcast:0 row_mask:0xf bank_mask:0xf// 000000006278: 0A0852FA FF01501D
	v_mfma_f32_16x16x32_fp8_fp8 v[8:11], a[112:113], a[40:41], 0// 000000006280: D3F30008 1A025170
	v_mfma_f32_16x16x32_fp8_fp8 v[8:11], a[114:115], a[42:43], v[8:11]// 000000006288: D3F30008 1C225572
	v_mfma_f32_16x16x32_fp8_fp8 v[8:11], a[116:117], a[44:45], v[8:11]// 000000006290: D3F30008 1C225974
	v_mfma_f32_16x16x32_fp8_fp8 v[8:11], a[118:119], a[46:47], v[8:11]// 000000006298: D3F30008 1C225D76
	v_fma_f32 v140, v12, v6, v140                              // 0000000062A0: D1CB008C 06320D0C
	v_fma_f32 v141, v13, v6, v141                              // 0000000062A8: D1CB008D 06360D0D
	v_fma_f32 v142, v14, v6, v142                              // 0000000062B0: D1CB008E 063A0D0E
	v_fma_f32 v143, v15, v6, v143                              // 0000000062B8: D1CB008F 063E0D0F
	v_mfma_f32_16x16x32_fp8_fp8 v[12:15], a[120:121], a[40:41], 0// 0000000062C0: D3F3000C 1A025178
	v_mfma_f32_16x16x32_fp8_fp8 v[12:15], a[122:123], a[42:43], v[12:15]// 0000000062C8: D3F3000C 1C32557A
	v_mfma_f32_16x16x32_fp8_fp8 v[12:15], a[124:125], a[44:45], v[12:15]// 0000000062D0: D3F3000C 1C32597C
	v_mfma_f32_16x16x32_fp8_fp8 v[12:15], a[126:127], a[46:47], v[12:15]// 0000000062D8: D3F3000C 1C325D7E
	v_fma_f32 v108, v8, v4, v108                               // 0000000062E0: D1CB006C 05B20908
	v_fma_f32 v109, v9, v4, v109                               // 0000000062E8: D1CB006D 05B60909
	v_fma_f32 v110, v10, v4, v110                              // 0000000062F0: D1CB006E 05BA090A
	v_fma_f32 v111, v11, v4, v111                              // 0000000062F8: D1CB006F 05BE090B
	v_mul_f32_dpp v6, v29, v41 row_newbcast:1 row_mask:0xf bank_mask:0xf// 000000006300: 0A0C52FA FF01511D
	v_mfma_f32_16x16x32_fp8_fp8 v[8:11], a[128:129], a[40:41], 0// 000000006308: D3F30008 1A025180
	s_add_u32 s60, 0x180, s80                                  // 000000006310: 803C50FF 00000180
	s_cmp_lt_u32 s60, s81                                      // 000000006318: BF0A513C
	s_cselect_b32 s57, s57, 0                                  // 00000000631C: 85398039
	s_cselect_b32 s3, s3, 0                                    // 000000006320: 85038003
	v_mfma_f32_16x16x32_fp8_fp8 v[8:11], a[130:131], a[42:43], v[8:11]// 000000006324: D3F30008 1C225582
	s_add_u32 s60, 0x100, s80                                  // 00000000632C: 803C50FF 00000100
	s_cmp_lt_u32 s60, s81                                      // 000000006334: BF0A513C
	s_cselect_b32 s58, s58, 0                                  // 000000006338: 853A803A
	v_mfma_f32_16x16x32_fp8_fp8 v[8:11], a[132:133], a[44:45], v[8:11]// 00000000633C: D3F30008 1C225984
	s_add_u32 s60, 0x100, s80                                  // 000000006344: 803C50FF 00000100
	s_cmp_lt_u32 s60, s81                                      // 00000000634C: BF0A513C
	s_cselect_b32 s83, s83, 0                                  // 000000006350: 85538053
	s_cselect_b32 s4, s4, 0                                    // 000000006354: 85048004
	v_mfma_f32_16x16x32_fp8_fp8 v[8:11], a[134:135], a[46:47], v[8:11]// 000000006358: D3F30008 1C225D86
	s_add_u32 s24, s58, s24                                    // 000000006360: 8018183A
	s_addc_u32 s25, 0, s25                                     // 000000006364: 82191980
	v_fma_f32 v120, v12, v4, v120                              // 000000006368: D1CB0078 05E2090C
	v_fma_f32 v121, v13, v4, v121                              // 000000006370: D1CB0079 05E6090D
	v_fma_f32 v122, v14, v4, v122                              // 000000006378: D1CB007A 05EA090E
	v_fma_f32 v123, v15, v4, v123                              // 000000006380: D1CB007B 05EE090F
	v_mfma_f32_16x16x32_fp8_fp8 v[12:15], a[136:137], a[40:41], 0// 000000006388: D3F3000C 1A025188
	s_add_u32 s20, s57, s20                                    // 000000006390: 80141439
	s_addc_u32 s21, 0, s21                                     // 000000006394: 82151580
	s_add_u32 s28, s3, s28                                     // 000000006398: 801C1C03
	s_addc_u32 s29, 0, s29                                     // 00000000639C: 821D1D80
	v_mfma_f32_16x16x32_fp8_fp8 v[12:15], a[138:139], a[42:43], v[12:15]// 0000000063A0: D3F3000C 1C32558A
	s_add_u32 s84, s83, s84                                    // 0000000063A8: 80545453
	s_addc_u32 s85, 0, s85                                     // 0000000063AC: 82555580
	v_mfma_f32_16x16x32_fp8_fp8 v[12:15], a[140:141], a[44:45], v[12:15]// 0000000063B0: D3F3000C 1C32598C
	s_add_u32 s32, s4, s32                                     // 0000000063B8: 80202004
	s_addc_u32 s33, 0, s33                                     // 0000000063BC: 82212180
	v_mfma_f32_16x16x32_fp8_fp8 v[12:15], a[142:143], a[46:47], v[12:15]// 0000000063C0: D3F3000C 1C325D8E
	v_fma_f32 v132, v8, v6, v132                               // 0000000063C8: D1CB0084 06120D08
	v_fma_f32 v133, v9, v6, v133                               // 0000000063D0: D1CB0085 06160D09
	v_fma_f32 v134, v10, v6, v134                              // 0000000063D8: D1CB0086 061A0D0A
	v_fma_f32 v135, v11, v6, v135                              // 0000000063E0: D1CB0087 061E0D0B
	v_fma_f32 v144, v12, v6, v144                              // 0000000063E8: D1CB0090 06420D0C
	v_fma_f32 v145, v13, v6, v145                              // 0000000063F0: D1CB0091 06460D0D
	v_fma_f32 v146, v14, v6, v146                              // 0000000063F8: D1CB0092 064A0D0E
	v_fma_f32 v147, v15, v6, v147                              // 000000006400: D1CB0093 064E0D0F
	s_addk_i32 s80, 0x80                                       // 000000006408: B7500080
	s_cmp_lt_i32 s80, s81                                      // 00000000640C: BF045150
	s_cbranch_scc0 label_0E86                                  // 000000006410: BF840001
	s_branch label_0273                                        // 000000006414: BF82F3ED

0000000000006418 <label_0E86>:
	s_cmp_eq_u32 s88, 0                                        // 000000006418: BF068058
	s_cbranch_scc0 label_1599                                  // 00000000641C: BF840711
	s_cmp_eq_u32 s89, 0                                        // 000000006420: BF068059
	s_cbranch_scc1 label_106F                                  // 000000006424: BF8501E5
	v_mov_b32_e32 v8, v1                                       // 000000006428: 7E100301
	v_mov_b32_e32 v9, v1                                       // 00000000642C: 7E120301
	s_mov_b32 s60, s6                                          // 000000006430: BEBC0006
	s_mov_b32 s61, s6                                          // 000000006434: BEBD0006
	v_pk_mul_f32 v[4:5], v[52:53], v[52:53]                    // 000000006438: D3B14004 18026934
	v_pk_mul_f32 v[6:7], v[54:55], v[54:55]                    // 000000006440: D3B14006 18026D36
	v_pk_fma_f32 v[4:5], v[4:5], s[78:79], v[8:9]              // 000000006448: D3B04004 1C209D04
	v_pk_fma_f32 v[6:7], v[6:7], s[78:79], v[8:9]              // 000000006450: D3B04006 1C209D06
	v_pk_mul_f32 v[4:5], v[4:5], v[52:53]                      // 000000006458: D3B14004 18026904
	v_pk_mul_f32 v[6:7], v[6:7], v[54:55]                      // 000000006460: D3B14006 18026D06
	v_pk_mul_f32 v[4:5], v[4:5], s[60:61]                      // 000000006468: D3B14004 18007904
	v_pk_mul_f32 v[6:7], v[6:7], s[60:61]                      // 000000006470: D3B14006 18007906
	v_exp_f32_e32 v4, v4                                       // 000000006478: 7E084104
	v_exp_f32_e32 v5, v5                                       // 00000000647C: 7E0A4105
	v_exp_f32_e32 v6, v6                                       // 000000006480: 7E0C4106
	v_exp_f32_e32 v7, v7                                       // 000000006484: 7E0E4107
	v_add_f32_e64 v4, v4, 1.0                                  // 000000006488: D1010004 0001E504
	v_add_f32_e64 v5, v5, 1.0                                  // 000000006490: D1010005 0001E505
	v_add_f32_e64 v6, v6, 1.0                                  // 000000006498: D1010006 0001E506
	v_add_f32_e64 v7, v7, 1.0                                  // 0000000064A0: D1010007 0001E507
	v_rcp_f32_e32 v4, v4                                       // 0000000064A8: 7E084504
	v_rcp_f32_e32 v5, v5                                       // 0000000064AC: 7E0A4505
	v_rcp_f32_e32 v6, v6                                       // 0000000064B0: 7E0C4506
	v_rcp_f32_e32 v7, v7                                       // 0000000064B4: 7E0E4507
	v_mul_f32_e32 v52, v52, v4                                 // 0000000064B8: 0A680934
	v_mul_f32_e32 v53, v53, v5                                 // 0000000064BC: 0A6A0B35
	v_mul_f32_e32 v54, v54, v6                                 // 0000000064C0: 0A6C0D36
	v_mul_f32_e32 v55, v55, v7                                 // 0000000064C4: 0A6E0F37
	v_mul_f32_e32 v52, v52, v100                               // 0000000064C8: 0A68C934
	v_mul_f32_e32 v53, v53, v101                               // 0000000064CC: 0A6ACB35
	v_mul_f32_e32 v54, v54, v102                               // 0000000064D0: 0A6CCD36
	v_mul_f32_e32 v55, v55, v103                               // 0000000064D4: 0A6ECF37
	v_pk_mul_f32 v[4:5], v[56:57], v[56:57]                    // 0000000064D8: D3B14004 18027138
	v_pk_mul_f32 v[6:7], v[58:59], v[58:59]                    // 0000000064E0: D3B14006 1802753A
	v_pk_fma_f32 v[4:5], v[4:5], s[78:79], v[8:9]              // 0000000064E8: D3B04004 1C209D04
	v_pk_fma_f32 v[6:7], v[6:7], s[78:79], v[8:9]              // 0000000064F0: D3B04006 1C209D06
	v_pk_mul_f32 v[4:5], v[4:5], v[56:57]                      // 0000000064F8: D3B14004 18027104
	v_pk_mul_f32 v[6:7], v[6:7], v[58:59]                      // 000000006500: D3B14006 18027506
	v_pk_mul_f32 v[4:5], v[4:5], s[60:61]                      // 000000006508: D3B14004 18007904
	v_pk_mul_f32 v[6:7], v[6:7], s[60:61]                      // 000000006510: D3B14006 18007906
	v_exp_f32_e32 v4, v4                                       // 000000006518: 7E084104
	v_exp_f32_e32 v5, v5                                       // 00000000651C: 7E0A4105
	v_exp_f32_e32 v6, v6                                       // 000000006520: 7E0C4106
	v_exp_f32_e32 v7, v7                                       // 000000006524: 7E0E4107
	v_add_f32_e64 v4, v4, 1.0                                  // 000000006528: D1010004 0001E504
	v_add_f32_e64 v5, v5, 1.0                                  // 000000006530: D1010005 0001E505
	v_add_f32_e64 v6, v6, 1.0                                  // 000000006538: D1010006 0001E506
	v_add_f32_e64 v7, v7, 1.0                                  // 000000006540: D1010007 0001E507
	v_rcp_f32_e32 v4, v4                                       // 000000006548: 7E084504
	v_rcp_f32_e32 v5, v5                                       // 00000000654C: 7E0A4505
	v_rcp_f32_e32 v6, v6                                       // 000000006550: 7E0C4506
	v_rcp_f32_e32 v7, v7                                       // 000000006554: 7E0E4507
	v_mul_f32_e32 v56, v56, v4                                 // 000000006558: 0A700938
	v_mul_f32_e32 v57, v57, v5                                 // 00000000655C: 0A720B39
	v_mul_f32_e32 v58, v58, v6                                 // 000000006560: 0A740D3A
	v_mul_f32_e32 v59, v59, v7                                 // 000000006564: 0A760F3B
	v_mul_f32_e32 v56, v56, v104                               // 000000006568: 0A70D138
	v_mul_f32_e32 v57, v57, v105                               // 00000000656C: 0A72D339
	v_mul_f32_e32 v58, v58, v106                               // 000000006570: 0A74D53A
	v_mul_f32_e32 v59, v59, v107                               // 000000006574: 0A76D73B
	v_pk_mul_f32 v[4:5], v[60:61], v[60:61]                    // 000000006578: D3B14004 1802793C
	v_pk_mul_f32 v[6:7], v[62:63], v[62:63]                    // 000000006580: D3B14006 18027D3E
	v_pk_fma_f32 v[4:5], v[4:5], s[78:79], v[8:9]              // 000000006588: D3B04004 1C209D04
	v_pk_fma_f32 v[6:7], v[6:7], s[78:79], v[8:9]              // 000000006590: D3B04006 1C209D06
	v_pk_mul_f32 v[4:5], v[4:5], v[60:61]                      // 000000006598: D3B14004 18027904
	v_pk_mul_f32 v[6:7], v[6:7], v[62:63]                      // 0000000065A0: D3B14006 18027D06
	v_pk_mul_f32 v[4:5], v[4:5], s[60:61]                      // 0000000065A8: D3B14004 18007904
	v_pk_mul_f32 v[6:7], v[6:7], s[60:61]                      // 0000000065B0: D3B14006 18007906
	v_exp_f32_e32 v4, v4                                       // 0000000065B8: 7E084104
	v_exp_f32_e32 v5, v5                                       // 0000000065BC: 7E0A4105
	v_exp_f32_e32 v6, v6                                       // 0000000065C0: 7E0C4106
	v_exp_f32_e32 v7, v7                                       // 0000000065C4: 7E0E4107
	v_add_f32_e64 v4, v4, 1.0                                  // 0000000065C8: D1010004 0001E504
	v_add_f32_e64 v5, v5, 1.0                                  // 0000000065D0: D1010005 0001E505
	v_add_f32_e64 v6, v6, 1.0                                  // 0000000065D8: D1010006 0001E506
	v_add_f32_e64 v7, v7, 1.0                                  // 0000000065E0: D1010007 0001E507
	v_rcp_f32_e32 v4, v4                                       // 0000000065E8: 7E084504
	v_rcp_f32_e32 v5, v5                                       // 0000000065EC: 7E0A4505
	v_rcp_f32_e32 v6, v6                                       // 0000000065F0: 7E0C4506
	v_rcp_f32_e32 v7, v7                                       // 0000000065F4: 7E0E4507
	v_mul_f32_e32 v60, v60, v4                                 // 0000000065F8: 0A78093C
	v_mul_f32_e32 v61, v61, v5                                 // 0000000065FC: 0A7A0B3D
	v_mul_f32_e32 v62, v62, v6                                 // 000000006600: 0A7C0D3E
	v_mul_f32_e32 v63, v63, v7                                 // 000000006604: 0A7E0F3F
	v_mul_f32_e32 v60, v60, v108                               // 000000006608: 0A78D93C
	v_mul_f32_e32 v61, v61, v109                               // 00000000660C: 0A7ADB3D
	v_mul_f32_e32 v62, v62, v110                               // 000000006610: 0A7CDD3E
	v_mul_f32_e32 v63, v63, v111                               // 000000006614: 0A7EDF3F
	v_pk_mul_f32 v[4:5], v[64:65], v[64:65]                    // 000000006618: D3B14004 18028140
	v_pk_mul_f32 v[6:7], v[66:67], v[66:67]                    // 000000006620: D3B14006 18028542
	v_pk_fma_f32 v[4:5], v[4:5], s[78:79], v[8:9]              // 000000006628: D3B04004 1C209D04
	v_pk_fma_f32 v[6:7], v[6:7], s[78:79], v[8:9]              // 000000006630: D3B04006 1C209D06
	v_pk_mul_f32 v[4:5], v[4:5], v[64:65]                      // 000000006638: D3B14004 18028104
	v_pk_mul_f32 v[6:7], v[6:7], v[66:67]                      // 000000006640: D3B14006 18028506
	v_pk_mul_f32 v[4:5], v[4:5], s[60:61]                      // 000000006648: D3B14004 18007904
	v_pk_mul_f32 v[6:7], v[6:7], s[60:61]                      // 000000006650: D3B14006 18007906
	v_exp_f32_e32 v4, v4                                       // 000000006658: 7E084104
	v_exp_f32_e32 v5, v5                                       // 00000000665C: 7E0A4105
	v_exp_f32_e32 v6, v6                                       // 000000006660: 7E0C4106
	v_exp_f32_e32 v7, v7                                       // 000000006664: 7E0E4107
	v_add_f32_e64 v4, v4, 1.0                                  // 000000006668: D1010004 0001E504
	v_add_f32_e64 v5, v5, 1.0                                  // 000000006670: D1010005 0001E505
	v_add_f32_e64 v6, v6, 1.0                                  // 000000006678: D1010006 0001E506
	v_add_f32_e64 v7, v7, 1.0                                  // 000000006680: D1010007 0001E507
	v_rcp_f32_e32 v4, v4                                       // 000000006688: 7E084504
	v_rcp_f32_e32 v5, v5                                       // 00000000668C: 7E0A4505
	v_rcp_f32_e32 v6, v6                                       // 000000006690: 7E0C4506
	v_rcp_f32_e32 v7, v7                                       // 000000006694: 7E0E4507
	v_mul_f32_e32 v64, v64, v4                                 // 000000006698: 0A800940
	v_mul_f32_e32 v65, v65, v5                                 // 00000000669C: 0A820B41
	v_mul_f32_e32 v66, v66, v6                                 // 0000000066A0: 0A840D42
	v_mul_f32_e32 v67, v67, v7                                 // 0000000066A4: 0A860F43
	v_mul_f32_e32 v64, v64, v112                               // 0000000066A8: 0A80E140
	v_mul_f32_e32 v65, v65, v113                               // 0000000066AC: 0A82E341
	v_mul_f32_e32 v66, v66, v114                               // 0000000066B0: 0A84E542
	v_mul_f32_e32 v67, v67, v115                               // 0000000066B4: 0A86E743
	v_pk_mul_f32 v[4:5], v[68:69], v[68:69]                    // 0000000066B8: D3B14004 18028944
	v_pk_mul_f32 v[6:7], v[70:71], v[70:71]                    // 0000000066C0: D3B14006 18028D46
	v_pk_fma_f32 v[4:5], v[4:5], s[78:79], v[8:9]              // 0000000066C8: D3B04004 1C209D04
	v_pk_fma_f32 v[6:7], v[6:7], s[78:79], v[8:9]              // 0000000066D0: D3B04006 1C209D06
	v_pk_mul_f32 v[4:5], v[4:5], v[68:69]                      // 0000000066D8: D3B14004 18028904
	v_pk_mul_f32 v[6:7], v[6:7], v[70:71]                      // 0000000066E0: D3B14006 18028D06
	v_pk_mul_f32 v[4:5], v[4:5], s[60:61]                      // 0000000066E8: D3B14004 18007904
	v_pk_mul_f32 v[6:7], v[6:7], s[60:61]                      // 0000000066F0: D3B14006 18007906
	v_exp_f32_e32 v4, v4                                       // 0000000066F8: 7E084104
	v_exp_f32_e32 v5, v5                                       // 0000000066FC: 7E0A4105
	v_exp_f32_e32 v6, v6                                       // 000000006700: 7E0C4106
	v_exp_f32_e32 v7, v7                                       // 000000006704: 7E0E4107
	v_add_f32_e64 v4, v4, 1.0                                  // 000000006708: D1010004 0001E504
	v_add_f32_e64 v5, v5, 1.0                                  // 000000006710: D1010005 0001E505
	v_add_f32_e64 v6, v6, 1.0                                  // 000000006718: D1010006 0001E506
	v_add_f32_e64 v7, v7, 1.0                                  // 000000006720: D1010007 0001E507
	v_rcp_f32_e32 v4, v4                                       // 000000006728: 7E084504
	v_rcp_f32_e32 v5, v5                                       // 00000000672C: 7E0A4505
	v_rcp_f32_e32 v6, v6                                       // 000000006730: 7E0C4506
	v_rcp_f32_e32 v7, v7                                       // 000000006734: 7E0E4507
	v_mul_f32_e32 v68, v68, v4                                 // 000000006738: 0A880944
	v_mul_f32_e32 v69, v69, v5                                 // 00000000673C: 0A8A0B45
	v_mul_f32_e32 v70, v70, v6                                 // 000000006740: 0A8C0D46
	v_mul_f32_e32 v71, v71, v7                                 // 000000006744: 0A8E0F47
	v_mul_f32_e32 v68, v68, v116                               // 000000006748: 0A88E944
	v_mul_f32_e32 v69, v69, v117                               // 00000000674C: 0A8AEB45
	v_mul_f32_e32 v70, v70, v118                               // 000000006750: 0A8CED46
	v_mul_f32_e32 v71, v71, v119                               // 000000006754: 0A8EEF47
	v_pk_mul_f32 v[4:5], v[72:73], v[72:73]                    // 000000006758: D3B14004 18029148
	v_pk_mul_f32 v[6:7], v[74:75], v[74:75]                    // 000000006760: D3B14006 1802954A
	v_pk_fma_f32 v[4:5], v[4:5], s[78:79], v[8:9]              // 000000006768: D3B04004 1C209D04
	v_pk_fma_f32 v[6:7], v[6:7], s[78:79], v[8:9]              // 000000006770: D3B04006 1C209D06
	v_pk_mul_f32 v[4:5], v[4:5], v[72:73]                      // 000000006778: D3B14004 18029104
	v_pk_mul_f32 v[6:7], v[6:7], v[74:75]                      // 000000006780: D3B14006 18029506
	v_pk_mul_f32 v[4:5], v[4:5], s[60:61]                      // 000000006788: D3B14004 18007904
	v_pk_mul_f32 v[6:7], v[6:7], s[60:61]                      // 000000006790: D3B14006 18007906
	v_exp_f32_e32 v4, v4                                       // 000000006798: 7E084104
	v_exp_f32_e32 v5, v5                                       // 00000000679C: 7E0A4105
	v_exp_f32_e32 v6, v6                                       // 0000000067A0: 7E0C4106
	v_exp_f32_e32 v7, v7                                       // 0000000067A4: 7E0E4107
	v_add_f32_e64 v4, v4, 1.0                                  // 0000000067A8: D1010004 0001E504
	v_add_f32_e64 v5, v5, 1.0                                  // 0000000067B0: D1010005 0001E505
	v_add_f32_e64 v6, v6, 1.0                                  // 0000000067B8: D1010006 0001E506
	v_add_f32_e64 v7, v7, 1.0                                  // 0000000067C0: D1010007 0001E507
	v_rcp_f32_e32 v4, v4                                       // 0000000067C8: 7E084504
	v_rcp_f32_e32 v5, v5                                       // 0000000067CC: 7E0A4505
	v_rcp_f32_e32 v6, v6                                       // 0000000067D0: 7E0C4506
	v_rcp_f32_e32 v7, v7                                       // 0000000067D4: 7E0E4507
	v_mul_f32_e32 v72, v72, v4                                 // 0000000067D8: 0A900948
	v_mul_f32_e32 v73, v73, v5                                 // 0000000067DC: 0A920B49
	v_mul_f32_e32 v74, v74, v6                                 // 0000000067E0: 0A940D4A
	v_mul_f32_e32 v75, v75, v7                                 // 0000000067E4: 0A960F4B
	v_mul_f32_e32 v72, v72, v120                               // 0000000067E8: 0A90F148
	v_mul_f32_e32 v73, v73, v121                               // 0000000067EC: 0A92F349
	v_mul_f32_e32 v74, v74, v122                               // 0000000067F0: 0A94F54A
	v_mul_f32_e32 v75, v75, v123                               // 0000000067F4: 0A96F74B
	v_pk_mul_f32 v[4:5], v[76:77], v[76:77]                    // 0000000067F8: D3B14004 1802994C
	v_pk_mul_f32 v[6:7], v[78:79], v[78:79]                    // 000000006800: D3B14006 18029D4E
	v_pk_fma_f32 v[4:5], v[4:5], s[78:79], v[8:9]              // 000000006808: D3B04004 1C209D04
	v_pk_fma_f32 v[6:7], v[6:7], s[78:79], v[8:9]              // 000000006810: D3B04006 1C209D06
	v_pk_mul_f32 v[4:5], v[4:5], v[76:77]                      // 000000006818: D3B14004 18029904
	v_pk_mul_f32 v[6:7], v[6:7], v[78:79]                      // 000000006820: D3B14006 18029D06
	v_pk_mul_f32 v[4:5], v[4:5], s[60:61]                      // 000000006828: D3B14004 18007904
	v_pk_mul_f32 v[6:7], v[6:7], s[60:61]                      // 000000006830: D3B14006 18007906
	v_exp_f32_e32 v4, v4                                       // 000000006838: 7E084104
	v_exp_f32_e32 v5, v5                                       // 00000000683C: 7E0A4105
	v_exp_f32_e32 v6, v6                                       // 000000006840: 7E0C4106
	v_exp_f32_e32 v7, v7                                       // 000000006844: 7E0E4107
	v_add_f32_e64 v4, v4, 1.0                                  // 000000006848: D1010004 0001E504
	v_add_f32_e64 v5, v5, 1.0                                  // 000000006850: D1010005 0001E505
	v_add_f32_e64 v6, v6, 1.0                                  // 000000006858: D1010006 0001E506
	v_add_f32_e64 v7, v7, 1.0                                  // 000000006860: D1010007 0001E507
	v_rcp_f32_e32 v4, v4                                       // 000000006868: 7E084504
	v_rcp_f32_e32 v5, v5                                       // 00000000686C: 7E0A4505
	v_rcp_f32_e32 v6, v6                                       // 000000006870: 7E0C4506
	v_rcp_f32_e32 v7, v7                                       // 000000006874: 7E0E4507
	v_mul_f32_e32 v76, v76, v4                                 // 000000006878: 0A98094C
	v_mul_f32_e32 v77, v77, v5                                 // 00000000687C: 0A9A0B4D
	v_mul_f32_e32 v78, v78, v6                                 // 000000006880: 0A9C0D4E
	v_mul_f32_e32 v79, v79, v7                                 // 000000006884: 0A9E0F4F
	v_mul_f32_e32 v76, v76, v124                               // 000000006888: 0A98F94C
	v_mul_f32_e32 v77, v77, v125                               // 00000000688C: 0A9AFB4D
	v_mul_f32_e32 v78, v78, v126                               // 000000006890: 0A9CFD4E
	v_mul_f32_e32 v79, v79, v127                               // 000000006894: 0A9EFF4F
	v_pk_mul_f32 v[4:5], v[80:81], v[80:81]                    // 000000006898: D3B14004 1802A150
	v_pk_mul_f32 v[6:7], v[82:83], v[82:83]                    // 0000000068A0: D3B14006 1802A552
	v_pk_fma_f32 v[4:5], v[4:5], s[78:79], v[8:9]              // 0000000068A8: D3B04004 1C209D04
	v_pk_fma_f32 v[6:7], v[6:7], s[78:79], v[8:9]              // 0000000068B0: D3B04006 1C209D06
	v_pk_mul_f32 v[4:5], v[4:5], v[80:81]                      // 0000000068B8: D3B14004 1802A104
	v_pk_mul_f32 v[6:7], v[6:7], v[82:83]                      // 0000000068C0: D3B14006 1802A506
	v_pk_mul_f32 v[4:5], v[4:5], s[60:61]                      // 0000000068C8: D3B14004 18007904
	v_pk_mul_f32 v[6:7], v[6:7], s[60:61]                      // 0000000068D0: D3B14006 18007906
	v_exp_f32_e32 v4, v4                                       // 0000000068D8: 7E084104
	v_exp_f32_e32 v5, v5                                       // 0000000068DC: 7E0A4105
	v_exp_f32_e32 v6, v6                                       // 0000000068E0: 7E0C4106
	v_exp_f32_e32 v7, v7                                       // 0000000068E4: 7E0E4107
	v_add_f32_e64 v4, v4, 1.0                                  // 0000000068E8: D1010004 0001E504
	v_add_f32_e64 v5, v5, 1.0                                  // 0000000068F0: D1010005 0001E505
	v_add_f32_e64 v6, v6, 1.0                                  // 0000000068F8: D1010006 0001E506
	v_add_f32_e64 v7, v7, 1.0                                  // 000000006900: D1010007 0001E507
	v_rcp_f32_e32 v4, v4                                       // 000000006908: 7E084504
	v_rcp_f32_e32 v5, v5                                       // 00000000690C: 7E0A4505
	v_rcp_f32_e32 v6, v6                                       // 000000006910: 7E0C4506
	v_rcp_f32_e32 v7, v7                                       // 000000006914: 7E0E4507
	v_mul_f32_e32 v80, v80, v4                                 // 000000006918: 0AA00950
	v_mul_f32_e32 v81, v81, v5                                 // 00000000691C: 0AA20B51
	v_mul_f32_e32 v82, v82, v6                                 // 000000006920: 0AA40D52
	v_mul_f32_e32 v83, v83, v7                                 // 000000006924: 0AA60F53
	v_mul_f32_e32 v80, v80, v128                               // 000000006928: 0AA10150
	v_mul_f32_e32 v81, v81, v129                               // 00000000692C: 0AA30351
	v_mul_f32_e32 v82, v82, v130                               // 000000006930: 0AA50552
	v_mul_f32_e32 v83, v83, v131                               // 000000006934: 0AA70753
	v_pk_mul_f32 v[4:5], v[84:85], v[84:85]                    // 000000006938: D3B14004 1802A954
	v_pk_mul_f32 v[6:7], v[86:87], v[86:87]                    // 000000006940: D3B14006 1802AD56
	v_pk_fma_f32 v[4:5], v[4:5], s[78:79], v[8:9]              // 000000006948: D3B04004 1C209D04
	v_pk_fma_f32 v[6:7], v[6:7], s[78:79], v[8:9]              // 000000006950: D3B04006 1C209D06
	v_pk_mul_f32 v[4:5], v[4:5], v[84:85]                      // 000000006958: D3B14004 1802A904
	v_pk_mul_f32 v[6:7], v[6:7], v[86:87]                      // 000000006960: D3B14006 1802AD06
	v_pk_mul_f32 v[4:5], v[4:5], s[60:61]                      // 000000006968: D3B14004 18007904
	v_pk_mul_f32 v[6:7], v[6:7], s[60:61]                      // 000000006970: D3B14006 18007906
	v_exp_f32_e32 v4, v4                                       // 000000006978: 7E084104
	v_exp_f32_e32 v5, v5                                       // 00000000697C: 7E0A4105
	v_exp_f32_e32 v6, v6                                       // 000000006980: 7E0C4106
	v_exp_f32_e32 v7, v7                                       // 000000006984: 7E0E4107
	v_add_f32_e64 v4, v4, 1.0                                  // 000000006988: D1010004 0001E504
	v_add_f32_e64 v5, v5, 1.0                                  // 000000006990: D1010005 0001E505
	v_add_f32_e64 v6, v6, 1.0                                  // 000000006998: D1010006 0001E506
	v_add_f32_e64 v7, v7, 1.0                                  // 0000000069A0: D1010007 0001E507
	v_rcp_f32_e32 v4, v4                                       // 0000000069A8: 7E084504
	v_rcp_f32_e32 v5, v5                                       // 0000000069AC: 7E0A4505
	v_rcp_f32_e32 v6, v6                                       // 0000000069B0: 7E0C4506
	v_rcp_f32_e32 v7, v7                                       // 0000000069B4: 7E0E4507
	v_mul_f32_e32 v84, v84, v4                                 // 0000000069B8: 0AA80954
	v_mul_f32_e32 v85, v85, v5                                 // 0000000069BC: 0AAA0B55
	v_mul_f32_e32 v86, v86, v6                                 // 0000000069C0: 0AAC0D56
	v_mul_f32_e32 v87, v87, v7                                 // 0000000069C4: 0AAE0F57
	v_mul_f32_e32 v84, v84, v132                               // 0000000069C8: 0AA90954
	v_mul_f32_e32 v85, v85, v133                               // 0000000069CC: 0AAB0B55
	v_mul_f32_e32 v86, v86, v134                               // 0000000069D0: 0AAD0D56
	v_mul_f32_e32 v87, v87, v135                               // 0000000069D4: 0AAF0F57
	v_pk_mul_f32 v[4:5], v[88:89], v[88:89]                    // 0000000069D8: D3B14004 1802B158
	v_pk_mul_f32 v[6:7], v[90:91], v[90:91]                    // 0000000069E0: D3B14006 1802B55A
	v_pk_fma_f32 v[4:5], v[4:5], s[78:79], v[8:9]              // 0000000069E8: D3B04004 1C209D04
	v_pk_fma_f32 v[6:7], v[6:7], s[78:79], v[8:9]              // 0000000069F0: D3B04006 1C209D06
	v_pk_mul_f32 v[4:5], v[4:5], v[88:89]                      // 0000000069F8: D3B14004 1802B104
	v_pk_mul_f32 v[6:7], v[6:7], v[90:91]                      // 000000006A00: D3B14006 1802B506
	v_pk_mul_f32 v[4:5], v[4:5], s[60:61]                      // 000000006A08: D3B14004 18007904
	v_pk_mul_f32 v[6:7], v[6:7], s[60:61]                      // 000000006A10: D3B14006 18007906
	v_exp_f32_e32 v4, v4                                       // 000000006A18: 7E084104
	v_exp_f32_e32 v5, v5                                       // 000000006A1C: 7E0A4105
	v_exp_f32_e32 v6, v6                                       // 000000006A20: 7E0C4106
	v_exp_f32_e32 v7, v7                                       // 000000006A24: 7E0E4107
	v_add_f32_e64 v4, v4, 1.0                                  // 000000006A28: D1010004 0001E504
	v_add_f32_e64 v5, v5, 1.0                                  // 000000006A30: D1010005 0001E505
	v_add_f32_e64 v6, v6, 1.0                                  // 000000006A38: D1010006 0001E506
	v_add_f32_e64 v7, v7, 1.0                                  // 000000006A40: D1010007 0001E507
	v_rcp_f32_e32 v4, v4                                       // 000000006A48: 7E084504
	v_rcp_f32_e32 v5, v5                                       // 000000006A4C: 7E0A4505
	v_rcp_f32_e32 v6, v6                                       // 000000006A50: 7E0C4506
	v_rcp_f32_e32 v7, v7                                       // 000000006A54: 7E0E4507
	v_mul_f32_e32 v88, v88, v4                                 // 000000006A58: 0AB00958
	v_mul_f32_e32 v89, v89, v5                                 // 000000006A5C: 0AB20B59
	v_mul_f32_e32 v90, v90, v6                                 // 000000006A60: 0AB40D5A
	v_mul_f32_e32 v91, v91, v7                                 // 000000006A64: 0AB60F5B
	v_mul_f32_e32 v88, v88, v136                               // 000000006A68: 0AB11158
	v_mul_f32_e32 v89, v89, v137                               // 000000006A6C: 0AB31359
	v_mul_f32_e32 v90, v90, v138                               // 000000006A70: 0AB5155A
	v_mul_f32_e32 v91, v91, v139                               // 000000006A74: 0AB7175B
	v_pk_mul_f32 v[4:5], v[92:93], v[92:93]                    // 000000006A78: D3B14004 1802B95C
	v_pk_mul_f32 v[6:7], v[94:95], v[94:95]                    // 000000006A80: D3B14006 1802BD5E
	v_pk_fma_f32 v[4:5], v[4:5], s[78:79], v[8:9]              // 000000006A88: D3B04004 1C209D04
	v_pk_fma_f32 v[6:7], v[6:7], s[78:79], v[8:9]              // 000000006A90: D3B04006 1C209D06
	v_pk_mul_f32 v[4:5], v[4:5], v[92:93]                      // 000000006A98: D3B14004 1802B904
	v_pk_mul_f32 v[6:7], v[6:7], v[94:95]                      // 000000006AA0: D3B14006 1802BD06
	v_pk_mul_f32 v[4:5], v[4:5], s[60:61]                      // 000000006AA8: D3B14004 18007904
	v_pk_mul_f32 v[6:7], v[6:7], s[60:61]                      // 000000006AB0: D3B14006 18007906
	v_exp_f32_e32 v4, v4                                       // 000000006AB8: 7E084104
	v_exp_f32_e32 v5, v5                                       // 000000006ABC: 7E0A4105
	v_exp_f32_e32 v6, v6                                       // 000000006AC0: 7E0C4106
	v_exp_f32_e32 v7, v7                                       // 000000006AC4: 7E0E4107
	v_add_f32_e64 v4, v4, 1.0                                  // 000000006AC8: D1010004 0001E504
	v_add_f32_e64 v5, v5, 1.0                                  // 000000006AD0: D1010005 0001E505
	v_add_f32_e64 v6, v6, 1.0                                  // 000000006AD8: D1010006 0001E506
	v_add_f32_e64 v7, v7, 1.0                                  // 000000006AE0: D1010007 0001E507
	v_rcp_f32_e32 v4, v4                                       // 000000006AE8: 7E084504
	v_rcp_f32_e32 v5, v5                                       // 000000006AEC: 7E0A4505
	v_rcp_f32_e32 v6, v6                                       // 000000006AF0: 7E0C4506
	v_rcp_f32_e32 v7, v7                                       // 000000006AF4: 7E0E4507
	v_mul_f32_e32 v92, v92, v4                                 // 000000006AF8: 0AB8095C
	v_mul_f32_e32 v93, v93, v5                                 // 000000006AFC: 0ABA0B5D
	v_mul_f32_e32 v94, v94, v6                                 // 000000006B00: 0ABC0D5E
	v_mul_f32_e32 v95, v95, v7                                 // 000000006B04: 0ABE0F5F
	v_mul_f32_e32 v92, v92, v140                               // 000000006B08: 0AB9195C
	v_mul_f32_e32 v93, v93, v141                               // 000000006B0C: 0ABB1B5D
	v_mul_f32_e32 v94, v94, v142                               // 000000006B10: 0ABD1D5E
	v_mul_f32_e32 v95, v95, v143                               // 000000006B14: 0ABF1F5F
	v_pk_mul_f32 v[4:5], v[96:97], v[96:97]                    // 000000006B18: D3B14004 1802C160
	v_pk_mul_f32 v[6:7], v[98:99], v[98:99]                    // 000000006B20: D3B14006 1802C562
	v_pk_fma_f32 v[4:5], v[4:5], s[78:79], v[8:9]              // 000000006B28: D3B04004 1C209D04
	v_pk_fma_f32 v[6:7], v[6:7], s[78:79], v[8:9]              // 000000006B30: D3B04006 1C209D06
	v_pk_mul_f32 v[4:5], v[4:5], v[96:97]                      // 000000006B38: D3B14004 1802C104
	v_pk_mul_f32 v[6:7], v[6:7], v[98:99]                      // 000000006B40: D3B14006 1802C506
	v_pk_mul_f32 v[4:5], v[4:5], s[60:61]                      // 000000006B48: D3B14004 18007904
	v_pk_mul_f32 v[6:7], v[6:7], s[60:61]                      // 000000006B50: D3B14006 18007906
	v_exp_f32_e32 v4, v4                                       // 000000006B58: 7E084104
	v_exp_f32_e32 v5, v5                                       // 000000006B5C: 7E0A4105
	v_exp_f32_e32 v6, v6                                       // 000000006B60: 7E0C4106
	v_exp_f32_e32 v7, v7                                       // 000000006B64: 7E0E4107
	v_add_f32_e64 v4, v4, 1.0                                  // 000000006B68: D1010004 0001E504
	v_add_f32_e64 v5, v5, 1.0                                  // 000000006B70: D1010005 0001E505
	v_add_f32_e64 v6, v6, 1.0                                  // 000000006B78: D1010006 0001E506
	v_add_f32_e64 v7, v7, 1.0                                  // 000000006B80: D1010007 0001E507
	v_rcp_f32_e32 v4, v4                                       // 000000006B88: 7E084504
	v_rcp_f32_e32 v5, v5                                       // 000000006B8C: 7E0A4505
	v_rcp_f32_e32 v6, v6                                       // 000000006B90: 7E0C4506
	v_rcp_f32_e32 v7, v7                                       // 000000006B94: 7E0E4507
	v_mul_f32_e32 v96, v96, v4                                 // 000000006B98: 0AC00960
	v_mul_f32_e32 v97, v97, v5                                 // 000000006B9C: 0AC20B61
	v_mul_f32_e32 v98, v98, v6                                 // 000000006BA0: 0AC40D62
	v_mul_f32_e32 v99, v99, v7                                 // 000000006BA4: 0AC60F63
	v_mul_f32_e32 v96, v96, v144                               // 000000006BA8: 0AC12160
	v_mul_f32_e32 v97, v97, v145                               // 000000006BAC: 0AC32361
	v_mul_f32_e32 v98, v98, v146                               // 000000006BB0: 0AC52562
	v_mul_f32_e32 v99, v99, v147                               // 000000006BB4: 0AC72763
	s_branch label_11EF                                        // 000000006BB8: BF820180

0000000000006bbc <label_106F>:
	v_mul_f32_e64 v4, -v52, s6                                 // 000000006BBC: D1050004 20000D34
	v_mul_f32_e64 v5, -v53, s6                                 // 000000006BC4: D1050005 20000D35
	v_mul_f32_e64 v6, -v54, s6                                 // 000000006BCC: D1050006 20000D36
	v_mul_f32_e64 v7, -v55, s6                                 // 000000006BD4: D1050007 20000D37
	v_exp_f32_e32 v4, v4                                       // 000000006BDC: 7E084104
	v_exp_f32_e32 v5, v5                                       // 000000006BE0: 7E0A4105
	v_exp_f32_e32 v6, v6                                       // 000000006BE4: 7E0C4106
	v_exp_f32_e32 v7, v7                                       // 000000006BE8: 7E0E4107
	v_add_f32_e64 v4, v4, 1.0                                  // 000000006BEC: D1010004 0001E504
	v_add_f32_e64 v5, v5, 1.0                                  // 000000006BF4: D1010005 0001E505
	v_add_f32_e64 v6, v6, 1.0                                  // 000000006BFC: D1010006 0001E506
	v_add_f32_e64 v7, v7, 1.0                                  // 000000006C04: D1010007 0001E507
	v_rcp_f32_e32 v4, v4                                       // 000000006C0C: 7E084504
	v_rcp_f32_e32 v5, v5                                       // 000000006C10: 7E0A4505
	v_rcp_f32_e32 v6, v6                                       // 000000006C14: 7E0C4506
	v_rcp_f32_e32 v7, v7                                       // 000000006C18: 7E0E4507
	v_mul_f32_e32 v52, v52, v4                                 // 000000006C1C: 0A680934
	v_mul_f32_e32 v53, v53, v5                                 // 000000006C20: 0A6A0B35
	v_mul_f32_e32 v54, v54, v6                                 // 000000006C24: 0A6C0D36
	v_mul_f32_e32 v55, v55, v7                                 // 000000006C28: 0A6E0F37
	v_mul_f32_e32 v52, v52, v100                               // 000000006C2C: 0A68C934
	v_mul_f32_e32 v53, v53, v101                               // 000000006C30: 0A6ACB35
	v_mul_f32_e32 v54, v54, v102                               // 000000006C34: 0A6CCD36
	v_mul_f32_e32 v55, v55, v103                               // 000000006C38: 0A6ECF37
	v_mul_f32_e64 v4, -v56, s6                                 // 000000006C3C: D1050004 20000D38
	v_mul_f32_e64 v5, -v57, s6                                 // 000000006C44: D1050005 20000D39
	v_mul_f32_e64 v6, -v58, s6                                 // 000000006C4C: D1050006 20000D3A
	v_mul_f32_e64 v7, -v59, s6                                 // 000000006C54: D1050007 20000D3B
	v_exp_f32_e32 v4, v4                                       // 000000006C5C: 7E084104
	v_exp_f32_e32 v5, v5                                       // 000000006C60: 7E0A4105
	v_exp_f32_e32 v6, v6                                       // 000000006C64: 7E0C4106
	v_exp_f32_e32 v7, v7                                       // 000000006C68: 7E0E4107
	v_add_f32_e64 v4, v4, 1.0                                  // 000000006C6C: D1010004 0001E504
	v_add_f32_e64 v5, v5, 1.0                                  // 000000006C74: D1010005 0001E505
	v_add_f32_e64 v6, v6, 1.0                                  // 000000006C7C: D1010006 0001E506
	v_add_f32_e64 v7, v7, 1.0                                  // 000000006C84: D1010007 0001E507
	v_rcp_f32_e32 v4, v4                                       // 000000006C8C: 7E084504
	v_rcp_f32_e32 v5, v5                                       // 000000006C90: 7E0A4505
	v_rcp_f32_e32 v6, v6                                       // 000000006C94: 7E0C4506
	v_rcp_f32_e32 v7, v7                                       // 000000006C98: 7E0E4507
	v_mul_f32_e32 v56, v56, v4                                 // 000000006C9C: 0A700938
	v_mul_f32_e32 v57, v57, v5                                 // 000000006CA0: 0A720B39
	v_mul_f32_e32 v58, v58, v6                                 // 000000006CA4: 0A740D3A
	v_mul_f32_e32 v59, v59, v7                                 // 000000006CA8: 0A760F3B
	v_mul_f32_e32 v56, v56, v104                               // 000000006CAC: 0A70D138
	v_mul_f32_e32 v57, v57, v105                               // 000000006CB0: 0A72D339
	v_mul_f32_e32 v58, v58, v106                               // 000000006CB4: 0A74D53A
	v_mul_f32_e32 v59, v59, v107                               // 000000006CB8: 0A76D73B
	v_mul_f32_e64 v4, -v60, s6                                 // 000000006CBC: D1050004 20000D3C
	v_mul_f32_e64 v5, -v61, s6                                 // 000000006CC4: D1050005 20000D3D
	v_mul_f32_e64 v6, -v62, s6                                 // 000000006CCC: D1050006 20000D3E
	v_mul_f32_e64 v7, -v63, s6                                 // 000000006CD4: D1050007 20000D3F
	v_exp_f32_e32 v4, v4                                       // 000000006CDC: 7E084104
	v_exp_f32_e32 v5, v5                                       // 000000006CE0: 7E0A4105
	v_exp_f32_e32 v6, v6                                       // 000000006CE4: 7E0C4106
	v_exp_f32_e32 v7, v7                                       // 000000006CE8: 7E0E4107
	v_add_f32_e64 v4, v4, 1.0                                  // 000000006CEC: D1010004 0001E504
	v_add_f32_e64 v5, v5, 1.0                                  // 000000006CF4: D1010005 0001E505
	v_add_f32_e64 v6, v6, 1.0                                  // 000000006CFC: D1010006 0001E506
	v_add_f32_e64 v7, v7, 1.0                                  // 000000006D04: D1010007 0001E507
	v_rcp_f32_e32 v4, v4                                       // 000000006D0C: 7E084504
	v_rcp_f32_e32 v5, v5                                       // 000000006D10: 7E0A4505
	v_rcp_f32_e32 v6, v6                                       // 000000006D14: 7E0C4506
	v_rcp_f32_e32 v7, v7                                       // 000000006D18: 7E0E4507
	v_mul_f32_e32 v60, v60, v4                                 // 000000006D1C: 0A78093C
	v_mul_f32_e32 v61, v61, v5                                 // 000000006D20: 0A7A0B3D
	v_mul_f32_e32 v62, v62, v6                                 // 000000006D24: 0A7C0D3E
	v_mul_f32_e32 v63, v63, v7                                 // 000000006D28: 0A7E0F3F
	v_mul_f32_e32 v60, v60, v108                               // 000000006D2C: 0A78D93C
	v_mul_f32_e32 v61, v61, v109                               // 000000006D30: 0A7ADB3D
	v_mul_f32_e32 v62, v62, v110                               // 000000006D34: 0A7CDD3E
	v_mul_f32_e32 v63, v63, v111                               // 000000006D38: 0A7EDF3F
	v_mul_f32_e64 v4, -v64, s6                                 // 000000006D3C: D1050004 20000D40
	v_mul_f32_e64 v5, -v65, s6                                 // 000000006D44: D1050005 20000D41
	v_mul_f32_e64 v6, -v66, s6                                 // 000000006D4C: D1050006 20000D42
	v_mul_f32_e64 v7, -v67, s6                                 // 000000006D54: D1050007 20000D43
	v_exp_f32_e32 v4, v4                                       // 000000006D5C: 7E084104
	v_exp_f32_e32 v5, v5                                       // 000000006D60: 7E0A4105
	v_exp_f32_e32 v6, v6                                       // 000000006D64: 7E0C4106
	v_exp_f32_e32 v7, v7                                       // 000000006D68: 7E0E4107
	v_add_f32_e64 v4, v4, 1.0                                  // 000000006D6C: D1010004 0001E504
	v_add_f32_e64 v5, v5, 1.0                                  // 000000006D74: D1010005 0001E505
	v_add_f32_e64 v6, v6, 1.0                                  // 000000006D7C: D1010006 0001E506
	v_add_f32_e64 v7, v7, 1.0                                  // 000000006D84: D1010007 0001E507
	v_rcp_f32_e32 v4, v4                                       // 000000006D8C: 7E084504
	v_rcp_f32_e32 v5, v5                                       // 000000006D90: 7E0A4505
	v_rcp_f32_e32 v6, v6                                       // 000000006D94: 7E0C4506
	v_rcp_f32_e32 v7, v7                                       // 000000006D98: 7E0E4507
	v_mul_f32_e32 v64, v64, v4                                 // 000000006D9C: 0A800940
	v_mul_f32_e32 v65, v65, v5                                 // 000000006DA0: 0A820B41
	v_mul_f32_e32 v66, v66, v6                                 // 000000006DA4: 0A840D42
	v_mul_f32_e32 v67, v67, v7                                 // 000000006DA8: 0A860F43
	v_mul_f32_e32 v64, v64, v112                               // 000000006DAC: 0A80E140
	v_mul_f32_e32 v65, v65, v113                               // 000000006DB0: 0A82E341
	v_mul_f32_e32 v66, v66, v114                               // 000000006DB4: 0A84E542
	v_mul_f32_e32 v67, v67, v115                               // 000000006DB8: 0A86E743
	v_mul_f32_e64 v4, -v68, s6                                 // 000000006DBC: D1050004 20000D44
	v_mul_f32_e64 v5, -v69, s6                                 // 000000006DC4: D1050005 20000D45
	v_mul_f32_e64 v6, -v70, s6                                 // 000000006DCC: D1050006 20000D46
	v_mul_f32_e64 v7, -v71, s6                                 // 000000006DD4: D1050007 20000D47
	v_exp_f32_e32 v4, v4                                       // 000000006DDC: 7E084104
	v_exp_f32_e32 v5, v5                                       // 000000006DE0: 7E0A4105
	v_exp_f32_e32 v6, v6                                       // 000000006DE4: 7E0C4106
	v_exp_f32_e32 v7, v7                                       // 000000006DE8: 7E0E4107
	v_add_f32_e64 v4, v4, 1.0                                  // 000000006DEC: D1010004 0001E504
	v_add_f32_e64 v5, v5, 1.0                                  // 000000006DF4: D1010005 0001E505
	v_add_f32_e64 v6, v6, 1.0                                  // 000000006DFC: D1010006 0001E506
	v_add_f32_e64 v7, v7, 1.0                                  // 000000006E04: D1010007 0001E507
	v_rcp_f32_e32 v4, v4                                       // 000000006E0C: 7E084504
	v_rcp_f32_e32 v5, v5                                       // 000000006E10: 7E0A4505
	v_rcp_f32_e32 v6, v6                                       // 000000006E14: 7E0C4506
	v_rcp_f32_e32 v7, v7                                       // 000000006E18: 7E0E4507
	v_mul_f32_e32 v68, v68, v4                                 // 000000006E1C: 0A880944
	v_mul_f32_e32 v69, v69, v5                                 // 000000006E20: 0A8A0B45
	v_mul_f32_e32 v70, v70, v6                                 // 000000006E24: 0A8C0D46
	v_mul_f32_e32 v71, v71, v7                                 // 000000006E28: 0A8E0F47
	v_mul_f32_e32 v68, v68, v116                               // 000000006E2C: 0A88E944
	v_mul_f32_e32 v69, v69, v117                               // 000000006E30: 0A8AEB45
	v_mul_f32_e32 v70, v70, v118                               // 000000006E34: 0A8CED46
	v_mul_f32_e32 v71, v71, v119                               // 000000006E38: 0A8EEF47
	v_mul_f32_e64 v4, -v72, s6                                 // 000000006E3C: D1050004 20000D48
	v_mul_f32_e64 v5, -v73, s6                                 // 000000006E44: D1050005 20000D49
	v_mul_f32_e64 v6, -v74, s6                                 // 000000006E4C: D1050006 20000D4A
	v_mul_f32_e64 v7, -v75, s6                                 // 000000006E54: D1050007 20000D4B
	v_exp_f32_e32 v4, v4                                       // 000000006E5C: 7E084104
	v_exp_f32_e32 v5, v5                                       // 000000006E60: 7E0A4105
	v_exp_f32_e32 v6, v6                                       // 000000006E64: 7E0C4106
	v_exp_f32_e32 v7, v7                                       // 000000006E68: 7E0E4107
	v_add_f32_e64 v4, v4, 1.0                                  // 000000006E6C: D1010004 0001E504
	v_add_f32_e64 v5, v5, 1.0                                  // 000000006E74: D1010005 0001E505
	v_add_f32_e64 v6, v6, 1.0                                  // 000000006E7C: D1010006 0001E506
	v_add_f32_e64 v7, v7, 1.0                                  // 000000006E84: D1010007 0001E507
	v_rcp_f32_e32 v4, v4                                       // 000000006E8C: 7E084504
	v_rcp_f32_e32 v5, v5                                       // 000000006E90: 7E0A4505
	v_rcp_f32_e32 v6, v6                                       // 000000006E94: 7E0C4506
	v_rcp_f32_e32 v7, v7                                       // 000000006E98: 7E0E4507
	v_mul_f32_e32 v72, v72, v4                                 // 000000006E9C: 0A900948
	v_mul_f32_e32 v73, v73, v5                                 // 000000006EA0: 0A920B49
	v_mul_f32_e32 v74, v74, v6                                 // 000000006EA4: 0A940D4A
	v_mul_f32_e32 v75, v75, v7                                 // 000000006EA8: 0A960F4B
	v_mul_f32_e32 v72, v72, v120                               // 000000006EAC: 0A90F148
	v_mul_f32_e32 v73, v73, v121                               // 000000006EB0: 0A92F349
	v_mul_f32_e32 v74, v74, v122                               // 000000006EB4: 0A94F54A
	v_mul_f32_e32 v75, v75, v123                               // 000000006EB8: 0A96F74B
	v_mul_f32_e64 v4, -v76, s6                                 // 000000006EBC: D1050004 20000D4C
	v_mul_f32_e64 v5, -v77, s6                                 // 000000006EC4: D1050005 20000D4D
	v_mul_f32_e64 v6, -v78, s6                                 // 000000006ECC: D1050006 20000D4E
	v_mul_f32_e64 v7, -v79, s6                                 // 000000006ED4: D1050007 20000D4F
	v_exp_f32_e32 v4, v4                                       // 000000006EDC: 7E084104
	v_exp_f32_e32 v5, v5                                       // 000000006EE0: 7E0A4105
	v_exp_f32_e32 v6, v6                                       // 000000006EE4: 7E0C4106
	v_exp_f32_e32 v7, v7                                       // 000000006EE8: 7E0E4107
	v_add_f32_e64 v4, v4, 1.0                                  // 000000006EEC: D1010004 0001E504
	v_add_f32_e64 v5, v5, 1.0                                  // 000000006EF4: D1010005 0001E505
	v_add_f32_e64 v6, v6, 1.0                                  // 000000006EFC: D1010006 0001E506
	v_add_f32_e64 v7, v7, 1.0                                  // 000000006F04: D1010007 0001E507
	v_rcp_f32_e32 v4, v4                                       // 000000006F0C: 7E084504
	v_rcp_f32_e32 v5, v5                                       // 000000006F10: 7E0A4505
	v_rcp_f32_e32 v6, v6                                       // 000000006F14: 7E0C4506
	v_rcp_f32_e32 v7, v7                                       // 000000006F18: 7E0E4507
	v_mul_f32_e32 v76, v76, v4                                 // 000000006F1C: 0A98094C
	v_mul_f32_e32 v77, v77, v5                                 // 000000006F20: 0A9A0B4D
	v_mul_f32_e32 v78, v78, v6                                 // 000000006F24: 0A9C0D4E
	v_mul_f32_e32 v79, v79, v7                                 // 000000006F28: 0A9E0F4F
	v_mul_f32_e32 v76, v76, v124                               // 000000006F2C: 0A98F94C
	v_mul_f32_e32 v77, v77, v125                               // 000000006F30: 0A9AFB4D
	v_mul_f32_e32 v78, v78, v126                               // 000000006F34: 0A9CFD4E
	v_mul_f32_e32 v79, v79, v127                               // 000000006F38: 0A9EFF4F
	v_mul_f32_e64 v4, -v80, s6                                 // 000000006F3C: D1050004 20000D50
	v_mul_f32_e64 v5, -v81, s6                                 // 000000006F44: D1050005 20000D51
	v_mul_f32_e64 v6, -v82, s6                                 // 000000006F4C: D1050006 20000D52
	v_mul_f32_e64 v7, -v83, s6                                 // 000000006F54: D1050007 20000D53
	v_exp_f32_e32 v4, v4                                       // 000000006F5C: 7E084104
	v_exp_f32_e32 v5, v5                                       // 000000006F60: 7E0A4105
	v_exp_f32_e32 v6, v6                                       // 000000006F64: 7E0C4106
	v_exp_f32_e32 v7, v7                                       // 000000006F68: 7E0E4107
	v_add_f32_e64 v4, v4, 1.0                                  // 000000006F6C: D1010004 0001E504
	v_add_f32_e64 v5, v5, 1.0                                  // 000000006F74: D1010005 0001E505
	v_add_f32_e64 v6, v6, 1.0                                  // 000000006F7C: D1010006 0001E506
	v_add_f32_e64 v7, v7, 1.0                                  // 000000006F84: D1010007 0001E507
	v_rcp_f32_e32 v4, v4                                       // 000000006F8C: 7E084504
	v_rcp_f32_e32 v5, v5                                       // 000000006F90: 7E0A4505
	v_rcp_f32_e32 v6, v6                                       // 000000006F94: 7E0C4506
	v_rcp_f32_e32 v7, v7                                       // 000000006F98: 7E0E4507
	v_mul_f32_e32 v80, v80, v4                                 // 000000006F9C: 0AA00950
	v_mul_f32_e32 v81, v81, v5                                 // 000000006FA0: 0AA20B51
	v_mul_f32_e32 v82, v82, v6                                 // 000000006FA4: 0AA40D52
	v_mul_f32_e32 v83, v83, v7                                 // 000000006FA8: 0AA60F53
	v_mul_f32_e32 v80, v80, v128                               // 000000006FAC: 0AA10150
	v_mul_f32_e32 v81, v81, v129                               // 000000006FB0: 0AA30351
	v_mul_f32_e32 v82, v82, v130                               // 000000006FB4: 0AA50552
	v_mul_f32_e32 v83, v83, v131                               // 000000006FB8: 0AA70753
	v_mul_f32_e64 v4, -v84, s6                                 // 000000006FBC: D1050004 20000D54
	v_mul_f32_e64 v5, -v85, s6                                 // 000000006FC4: D1050005 20000D55
	v_mul_f32_e64 v6, -v86, s6                                 // 000000006FCC: D1050006 20000D56
	v_mul_f32_e64 v7, -v87, s6                                 // 000000006FD4: D1050007 20000D57
	v_exp_f32_e32 v4, v4                                       // 000000006FDC: 7E084104
	v_exp_f32_e32 v5, v5                                       // 000000006FE0: 7E0A4105
	v_exp_f32_e32 v6, v6                                       // 000000006FE4: 7E0C4106
	v_exp_f32_e32 v7, v7                                       // 000000006FE8: 7E0E4107
	v_add_f32_e64 v4, v4, 1.0                                  // 000000006FEC: D1010004 0001E504
	v_add_f32_e64 v5, v5, 1.0                                  // 000000006FF4: D1010005 0001E505
	v_add_f32_e64 v6, v6, 1.0                                  // 000000006FFC: D1010006 0001E506
	v_add_f32_e64 v7, v7, 1.0                                  // 000000007004: D1010007 0001E507
	v_rcp_f32_e32 v4, v4                                       // 00000000700C: 7E084504
	v_rcp_f32_e32 v5, v5                                       // 000000007010: 7E0A4505
	v_rcp_f32_e32 v6, v6                                       // 000000007014: 7E0C4506
	v_rcp_f32_e32 v7, v7                                       // 000000007018: 7E0E4507
	v_mul_f32_e32 v84, v84, v4                                 // 00000000701C: 0AA80954
	v_mul_f32_e32 v85, v85, v5                                 // 000000007020: 0AAA0B55
	v_mul_f32_e32 v86, v86, v6                                 // 000000007024: 0AAC0D56
	v_mul_f32_e32 v87, v87, v7                                 // 000000007028: 0AAE0F57
	v_mul_f32_e32 v84, v84, v132                               // 00000000702C: 0AA90954
	v_mul_f32_e32 v85, v85, v133                               // 000000007030: 0AAB0B55
	v_mul_f32_e32 v86, v86, v134                               // 000000007034: 0AAD0D56
	v_mul_f32_e32 v87, v87, v135                               // 000000007038: 0AAF0F57
	v_mul_f32_e64 v4, -v88, s6                                 // 00000000703C: D1050004 20000D58
	v_mul_f32_e64 v5, -v89, s6                                 // 000000007044: D1050005 20000D59
	v_mul_f32_e64 v6, -v90, s6                                 // 00000000704C: D1050006 20000D5A
	v_mul_f32_e64 v7, -v91, s6                                 // 000000007054: D1050007 20000D5B
	v_exp_f32_e32 v4, v4                                       // 00000000705C: 7E084104
	v_exp_f32_e32 v5, v5                                       // 000000007060: 7E0A4105
	v_exp_f32_e32 v6, v6                                       // 000000007064: 7E0C4106
	v_exp_f32_e32 v7, v7                                       // 000000007068: 7E0E4107
	v_add_f32_e64 v4, v4, 1.0                                  // 00000000706C: D1010004 0001E504
	v_add_f32_e64 v5, v5, 1.0                                  // 000000007074: D1010005 0001E505
	v_add_f32_e64 v6, v6, 1.0                                  // 00000000707C: D1010006 0001E506
	v_add_f32_e64 v7, v7, 1.0                                  // 000000007084: D1010007 0001E507
	v_rcp_f32_e32 v4, v4                                       // 00000000708C: 7E084504
	v_rcp_f32_e32 v5, v5                                       // 000000007090: 7E0A4505
	v_rcp_f32_e32 v6, v6                                       // 000000007094: 7E0C4506
	v_rcp_f32_e32 v7, v7                                       // 000000007098: 7E0E4507
	v_mul_f32_e32 v88, v88, v4                                 // 00000000709C: 0AB00958
	v_mul_f32_e32 v89, v89, v5                                 // 0000000070A0: 0AB20B59
	v_mul_f32_e32 v90, v90, v6                                 // 0000000070A4: 0AB40D5A
	v_mul_f32_e32 v91, v91, v7                                 // 0000000070A8: 0AB60F5B
	v_mul_f32_e32 v88, v88, v136                               // 0000000070AC: 0AB11158
	v_mul_f32_e32 v89, v89, v137                               // 0000000070B0: 0AB31359
	v_mul_f32_e32 v90, v90, v138                               // 0000000070B4: 0AB5155A
	v_mul_f32_e32 v91, v91, v139                               // 0000000070B8: 0AB7175B
	v_mul_f32_e64 v4, -v92, s6                                 // 0000000070BC: D1050004 20000D5C
	v_mul_f32_e64 v5, -v93, s6                                 // 0000000070C4: D1050005 20000D5D
	v_mul_f32_e64 v6, -v94, s6                                 // 0000000070CC: D1050006 20000D5E
	v_mul_f32_e64 v7, -v95, s6                                 // 0000000070D4: D1050007 20000D5F
	v_exp_f32_e32 v4, v4                                       // 0000000070DC: 7E084104
	v_exp_f32_e32 v5, v5                                       // 0000000070E0: 7E0A4105
	v_exp_f32_e32 v6, v6                                       // 0000000070E4: 7E0C4106
	v_exp_f32_e32 v7, v7                                       // 0000000070E8: 7E0E4107
	v_add_f32_e64 v4, v4, 1.0                                  // 0000000070EC: D1010004 0001E504
	v_add_f32_e64 v5, v5, 1.0                                  // 0000000070F4: D1010005 0001E505
	v_add_f32_e64 v6, v6, 1.0                                  // 0000000070FC: D1010006 0001E506
	v_add_f32_e64 v7, v7, 1.0                                  // 000000007104: D1010007 0001E507
	v_rcp_f32_e32 v4, v4                                       // 00000000710C: 7E084504
	v_rcp_f32_e32 v5, v5                                       // 000000007110: 7E0A4505
	v_rcp_f32_e32 v6, v6                                       // 000000007114: 7E0C4506
	v_rcp_f32_e32 v7, v7                                       // 000000007118: 7E0E4507
	v_mul_f32_e32 v92, v92, v4                                 // 00000000711C: 0AB8095C
	v_mul_f32_e32 v93, v93, v5                                 // 000000007120: 0ABA0B5D
	v_mul_f32_e32 v94, v94, v6                                 // 000000007124: 0ABC0D5E
	v_mul_f32_e32 v95, v95, v7                                 // 000000007128: 0ABE0F5F
	v_mul_f32_e32 v92, v92, v140                               // 00000000712C: 0AB9195C
	v_mul_f32_e32 v93, v93, v141                               // 000000007130: 0ABB1B5D
	v_mul_f32_e32 v94, v94, v142                               // 000000007134: 0ABD1D5E
	v_mul_f32_e32 v95, v95, v143                               // 000000007138: 0ABF1F5F
	v_mul_f32_e64 v4, -v96, s6                                 // 00000000713C: D1050004 20000D60
	v_mul_f32_e64 v5, -v97, s6                                 // 000000007144: D1050005 20000D61
	v_mul_f32_e64 v6, -v98, s6                                 // 00000000714C: D1050006 20000D62
	v_mul_f32_e64 v7, -v99, s6                                 // 000000007154: D1050007 20000D63
	v_exp_f32_e32 v4, v4                                       // 00000000715C: 7E084104
	v_exp_f32_e32 v5, v5                                       // 000000007160: 7E0A4105
	v_exp_f32_e32 v6, v6                                       // 000000007164: 7E0C4106
	v_exp_f32_e32 v7, v7                                       // 000000007168: 7E0E4107
	v_add_f32_e64 v4, v4, 1.0                                  // 00000000716C: D1010004 0001E504
	v_add_f32_e64 v5, v5, 1.0                                  // 000000007174: D1010005 0001E505
	v_add_f32_e64 v6, v6, 1.0                                  // 00000000717C: D1010006 0001E506
	v_add_f32_e64 v7, v7, 1.0                                  // 000000007184: D1010007 0001E507
	v_rcp_f32_e32 v4, v4                                       // 00000000718C: 7E084504
	v_rcp_f32_e32 v5, v5                                       // 000000007190: 7E0A4505
	v_rcp_f32_e32 v6, v6                                       // 000000007194: 7E0C4506
	v_rcp_f32_e32 v7, v7                                       // 000000007198: 7E0E4507
	v_mul_f32_e32 v96, v96, v4                                 // 00000000719C: 0AC00960
	v_mul_f32_e32 v97, v97, v5                                 // 0000000071A0: 0AC20B61
	v_mul_f32_e32 v98, v98, v6                                 // 0000000071A4: 0AC40D62
	v_mul_f32_e32 v99, v99, v7                                 // 0000000071A8: 0AC60F63
	v_mul_f32_e32 v96, v96, v144                               // 0000000071AC: 0AC12160
	v_mul_f32_e32 v97, v97, v145                               // 0000000071B0: 0AC32361
	v_mul_f32_e32 v98, v98, v146                               // 0000000071B4: 0AC52562
	v_mul_f32_e32 v99, v99, v147                               // 0000000071B8: 0AC72763

00000000000071bc <label_11EF>:
	s_cmp_eq_u32 s7, 0                                         // 0000000071BC: BF068007
	s_cbranch_scc0 label_11FC                                  // 0000000071C0: BF84000B
	v_and_b32_e32 v4, 15, v0                                   // 0000000071C4: 2608008F
	v_lshlrev_b32_e32 v4, 2, v4                                // 0000000071C8: 24080882
	buffer_load_dword v30, v4, s[12:15], 0 offen               // 0000000071CC: E0501000 80031E04
	v_add_u32_e32 v4, 64, v4                                   // 0000000071D4: 680808C0
	buffer_load_dword v31, v4, s[12:15], 0 offen               // 0000000071D8: E0501000 80031F04
	v_add_u32_e32 v4, 64, v4                                   // 0000000071E0: 680808C0
	buffer_load_dword v32, v4, s[12:15], 0 offen               // 0000000071E4: E0501000 80032004
	v_add_u32_e32 v4, 64, v4                                   // 0000000071EC: 680808C0

00000000000071f0 <label_11FC>:
	v_lshlrev_b32_e32 v4, 2, v0                                // 0000000071F0: 24080082
	s_mul_i32 s60, 0x100, s7                                   // 0000000071F4: 923C07FF 00000100
	v_add_u32_e32 v106, s60, v4                                // 0000000071FC: 68D4083C
	v_and_b32_e32 v4, 15, v0                                   // 000000007200: 2608008F
	v_lshlrev_b32_e32 v107, 2, v4                              // 000000007204: 24D60882
	s_waitcnt lgkmcnt(0)                                       // 000000007208: BF8CC07F
	s_barrier                                                  // 00000000720C: BF8A0000
	v_mov_b32_e32 v100, 0x358637bd                             // 000000007210: 7EC802FF 358637BD
	v_max3_f32 v100, |v52|, |v53|, v100                        // 000000007218: D1D30364 05926B34
	v_max3_f32 v100, |v54|, |v55|, v100                        // 000000007220: D1D30364 05926F36
	v_max3_f32 v100, |v64|, |v65|, v100                        // 000000007228: D1D30364 05928340
	v_max3_f32 v100, |v66|, |v67|, v100                        // 000000007230: D1D30364 05928742
	ds_write_b32 v106, v100                                    // 000000007238: D81A0000 0000646A
	s_waitcnt lgkmcnt(0)                                       // 000000007240: BF8CC07F
	s_barrier                                                  // 000000007244: BF8A0000
	ds_read_b32 v4, v107                                       // 000000007248: D86C0000 0400006B
	ds_read_b32 v5, v107 offset:64                             // 000000007250: D86C0040 0500006B
	ds_read_b32 v6, v107 offset:128                            // 000000007258: D86C0080 0600006B
	ds_read_b32 v7, v107 offset:192                            // 000000007260: D86C00C0 0700006B
	ds_read_b32 v8, v107 offset:256                            // 000000007268: D86C0100 0800006B
	ds_read_b32 v9, v107 offset:320                            // 000000007270: D86C0140 0900006B
	ds_read_b32 v10, v107 offset:384                           // 000000007278: D86C0180 0A00006B
	ds_read_b32 v11, v107 offset:448                           // 000000007280: D86C01C0 0B00006B
	ds_read_b32 v12, v107 offset:512                           // 000000007288: D86C0200 0C00006B
	ds_read_b32 v13, v107 offset:576                           // 000000007290: D86C0240 0D00006B
	ds_read_b32 v14, v107 offset:640                           // 000000007298: D86C0280 0E00006B
	ds_read_b32 v15, v107 offset:704                           // 0000000072A0: D86C02C0 0F00006B
	ds_read_b32 v16, v107 offset:768                           // 0000000072A8: D86C0300 1000006B
	ds_read_b32 v17, v107 offset:832                           // 0000000072B0: D86C0340 1100006B
	ds_read_b32 v18, v107 offset:896                           // 0000000072B8: D86C0380 1200006B
	ds_read_b32 v19, v107 offset:960                           // 0000000072C0: D86C03C0 1300006B
	s_waitcnt lgkmcnt(0)                                       // 0000000072C8: BF8CC07F
	s_barrier                                                  // 0000000072CC: BF8A0000
	v_max3_f32 v100, |v4|, |v5|, v100                          // 0000000072D0: D1D30364 05920B04
	v_max3_f32 v100, |v6|, |v7|, v100                          // 0000000072D8: D1D30364 05920F06
	v_max3_f32 v100, |v8|, |v9|, v100                          // 0000000072E0: D1D30364 05921308
	v_max3_f32 v100, |v10|, |v11|, v100                        // 0000000072E8: D1D30364 0592170A
	v_max3_f32 v100, |v12|, |v13|, v100                        // 0000000072F0: D1D30364 05921B0C
	v_max3_f32 v100, |v14|, |v15|, v100                        // 0000000072F8: D1D30364 05921F0E
	v_max3_f32 v100, |v16|, |v17|, v100                        // 000000007300: D1D30364 05922310
	v_max3_f32 v100, |v18|, |v19|, v100                        // 000000007308: D1D30364 05922712
	v_rcp_f32_e32 v100, v100                                   // 000000007310: 7EC84564
	v_mov_b32_e32 v4, 0x43700000                               // 000000007314: 7E0802FF 43700000
	v_mul_f32_e32 v100, v4, v100                               // 00000000731C: 0AC8C904
	v_mov_b32_e32 v4, v100                                     // 000000007320: 7E080364
	v_mov_b32_e32 v5, v4                                       // 000000007324: 7E0A0304
	v_pk_mul_f32 v[52:53], v[4:5], v[52:53]                    // 000000007328: D3B14034 18026904
	v_pk_mul_f32 v[54:55], v[4:5], v[54:55]                    // 000000007330: D3B14036 18026D04
	v_cvt_pk_fp8_f32 v52, v52, v53                             // 000000007338: D2A20034 00026B34
	v_cvt_pk_fp8_f32 v52, v54, v55 op_sel:[0,0,1]              // 000000007340: D2A24034 00026F36
	v_pk_mul_f32 v[64:65], v[4:5], v[64:65]                    // 000000007348: D3B14040 18028104
	v_pk_mul_f32 v[66:67], v[4:5], v[66:67]                    // 000000007350: D3B14042 18028504
	v_cvt_pk_fp8_f32 v64, v64, v65                             // 000000007358: D2A20040 00028340
	v_cvt_pk_fp8_f32 v64, v66, v67 op_sel:[0,0,1]              // 000000007360: D2A24040 00028742
	v_rcp_f32_e32 v100, v100                                   // 000000007368: 7EC84564
	v_mov_b32_e32 v103, 0x358637bd                             // 00000000736C: 7ECE02FF 358637BD
	v_max3_f32 v103, |v76|, |v77|, v103                        // 000000007374: D1D30367 059E9B4C
	v_max3_f32 v103, |v78|, |v79|, v103                        // 00000000737C: D1D30367 059E9F4E
	v_max3_f32 v103, |v88|, |v89|, v103                        // 000000007384: D1D30367 059EB358
	v_max3_f32 v103, |v90|, |v91|, v103                        // 00000000738C: D1D30367 059EB75A
	ds_write_b32 v106, v103                                    // 000000007394: D81A0000 0000676A
	s_waitcnt lgkmcnt(0)                                       // 00000000739C: BF8CC07F
	s_barrier                                                  // 0000000073A0: BF8A0000
	ds_read_b32 v4, v107                                       // 0000000073A4: D86C0000 0400006B
	ds_read_b32 v5, v107 offset:64                             // 0000000073AC: D86C0040 0500006B
	ds_read_b32 v6, v107 offset:128                            // 0000000073B4: D86C0080 0600006B
	ds_read_b32 v7, v107 offset:192                            // 0000000073BC: D86C00C0 0700006B
	ds_read_b32 v8, v107 offset:256                            // 0000000073C4: D86C0100 0800006B
	ds_read_b32 v9, v107 offset:320                            // 0000000073CC: D86C0140 0900006B
	ds_read_b32 v10, v107 offset:384                           // 0000000073D4: D86C0180 0A00006B
	ds_read_b32 v11, v107 offset:448                           // 0000000073DC: D86C01C0 0B00006B
	ds_read_b32 v12, v107 offset:512                           // 0000000073E4: D86C0200 0C00006B
	ds_read_b32 v13, v107 offset:576                           // 0000000073EC: D86C0240 0D00006B
	ds_read_b32 v14, v107 offset:640                           // 0000000073F4: D86C0280 0E00006B
	ds_read_b32 v15, v107 offset:704                           // 0000000073FC: D86C02C0 0F00006B
	ds_read_b32 v16, v107 offset:768                           // 000000007404: D86C0300 1000006B
	ds_read_b32 v17, v107 offset:832                           // 00000000740C: D86C0340 1100006B
	ds_read_b32 v18, v107 offset:896                           // 000000007414: D86C0380 1200006B
	ds_read_b32 v19, v107 offset:960                           // 00000000741C: D86C03C0 1300006B
	s_waitcnt lgkmcnt(0)                                       // 000000007424: BF8CC07F
	s_barrier                                                  // 000000007428: BF8A0000
	v_max3_f32 v103, |v4|, |v5|, v103                          // 00000000742C: D1D30367 059E0B04
	v_max3_f32 v103, |v6|, |v7|, v103                          // 000000007434: D1D30367 059E0F06
	v_max3_f32 v103, |v8|, |v9|, v103                          // 00000000743C: D1D30367 059E1308
	v_max3_f32 v103, |v10|, |v11|, v103                        // 000000007444: D1D30367 059E170A
	v_max3_f32 v103, |v12|, |v13|, v103                        // 00000000744C: D1D30367 059E1B0C
	v_max3_f32 v103, |v14|, |v15|, v103                        // 000000007454: D1D30367 059E1F0E
	v_max3_f32 v103, |v16|, |v17|, v103                        // 00000000745C: D1D30367 059E2310
	v_max3_f32 v103, |v18|, |v19|, v103                        // 000000007464: D1D30367 059E2712
	v_rcp_f32_e32 v103, v103                                   // 00000000746C: 7ECE4567
	v_mov_b32_e32 v4, 0x43700000                               // 000000007470: 7E0802FF 43700000
	v_mul_f32_e32 v103, v4, v103                               // 000000007478: 0ACECF04
	v_mov_b32_e32 v4, v103                                     // 00000000747C: 7E080367
	v_mov_b32_e32 v5, v4                                       // 000000007480: 7E0A0304
	v_pk_mul_f32 v[76:77], v[4:5], v[76:77]                    // 000000007484: D3B1404C 18029904
	v_pk_mul_f32 v[78:79], v[4:5], v[78:79]                    // 00000000748C: D3B1404E 18029D04
	v_cvt_pk_fp8_f32 v76, v76, v77                             // 000000007494: D2A2004C 00029B4C
	v_cvt_pk_fp8_f32 v76, v78, v79 op_sel:[0,0,1]              // 00000000749C: D2A2404C 00029F4E
	v_pk_mul_f32 v[88:89], v[4:5], v[88:89]                    // 0000000074A4: D3B14058 1802B104
	v_pk_mul_f32 v[90:91], v[4:5], v[90:91]                    // 0000000074AC: D3B1405A 1802B504
	v_cvt_pk_fp8_f32 v88, v88, v89                             // 0000000074B4: D2A20058 0002B358
	v_cvt_pk_fp8_f32 v88, v90, v91 op_sel:[0,0,1]              // 0000000074BC: D2A24058 0002B75A
	v_rcp_f32_e32 v103, v103                                   // 0000000074C4: 7ECE4567
	v_mov_b32_e32 v101, 0x358637bd                             // 0000000074C8: 7ECA02FF 358637BD
	v_max3_f32 v101, |v56|, |v57|, v101                        // 0000000074D0: D1D30365 05967338
	v_max3_f32 v101, |v58|, |v59|, v101                        // 0000000074D8: D1D30365 0596773A
	v_max3_f32 v101, |v68|, |v69|, v101                        // 0000000074E0: D1D30365 05968B44
	v_max3_f32 v101, |v70|, |v71|, v101                        // 0000000074E8: D1D30365 05968F46
	ds_write_b32 v106, v101                                    // 0000000074F0: D81A0000 0000656A
	s_waitcnt lgkmcnt(0)                                       // 0000000074F8: BF8CC07F
	s_barrier                                                  // 0000000074FC: BF8A0000
	ds_read_b32 v4, v107                                       // 000000007500: D86C0000 0400006B
	ds_read_b32 v5, v107 offset:64                             // 000000007508: D86C0040 0500006B
	ds_read_b32 v6, v107 offset:128                            // 000000007510: D86C0080 0600006B
	ds_read_b32 v7, v107 offset:192                            // 000000007518: D86C00C0 0700006B
	ds_read_b32 v8, v107 offset:256                            // 000000007520: D86C0100 0800006B
	ds_read_b32 v9, v107 offset:320                            // 000000007528: D86C0140 0900006B
	ds_read_b32 v10, v107 offset:384                           // 000000007530: D86C0180 0A00006B
	ds_read_b32 v11, v107 offset:448                           // 000000007538: D86C01C0 0B00006B
	ds_read_b32 v12, v107 offset:512                           // 000000007540: D86C0200 0C00006B
	ds_read_b32 v13, v107 offset:576                           // 000000007548: D86C0240 0D00006B
	ds_read_b32 v14, v107 offset:640                           // 000000007550: D86C0280 0E00006B
	ds_read_b32 v15, v107 offset:704                           // 000000007558: D86C02C0 0F00006B
	ds_read_b32 v16, v107 offset:768                           // 000000007560: D86C0300 1000006B
	ds_read_b32 v17, v107 offset:832                           // 000000007568: D86C0340 1100006B
	ds_read_b32 v18, v107 offset:896                           // 000000007570: D86C0380 1200006B
	ds_read_b32 v19, v107 offset:960                           // 000000007578: D86C03C0 1300006B
	s_waitcnt lgkmcnt(0)                                       // 000000007580: BF8CC07F
	s_barrier                                                  // 000000007584: BF8A0000
	v_max3_f32 v101, |v4|, |v5|, v101                          // 000000007588: D1D30365 05960B04
	v_max3_f32 v101, |v6|, |v7|, v101                          // 000000007590: D1D30365 05960F06
	v_max3_f32 v101, |v8|, |v9|, v101                          // 000000007598: D1D30365 05961308
	v_max3_f32 v101, |v10|, |v11|, v101                        // 0000000075A0: D1D30365 0596170A
	v_max3_f32 v101, |v12|, |v13|, v101                        // 0000000075A8: D1D30365 05961B0C
	v_max3_f32 v101, |v14|, |v15|, v101                        // 0000000075B0: D1D30365 05961F0E
	v_max3_f32 v101, |v16|, |v17|, v101                        // 0000000075B8: D1D30365 05962310
	v_max3_f32 v101, |v18|, |v19|, v101                        // 0000000075C0: D1D30365 05962712
	v_rcp_f32_e32 v101, v101                                   // 0000000075C8: 7ECA4565
	v_mov_b32_e32 v4, 0x43700000                               // 0000000075CC: 7E0802FF 43700000
	v_mul_f32_e32 v101, v4, v101                               // 0000000075D4: 0ACACB04
	v_mov_b32_e32 v4, v101                                     // 0000000075D8: 7E080365
	v_mov_b32_e32 v5, v4                                       // 0000000075DC: 7E0A0304
	v_pk_mul_f32 v[56:57], v[4:5], v[56:57]                    // 0000000075E0: D3B14038 18027104
	v_pk_mul_f32 v[58:59], v[4:5], v[58:59]                    // 0000000075E8: D3B1403A 18027504
	v_cvt_pk_fp8_f32 v56, v56, v57                             // 0000000075F0: D2A20038 00027338
	v_cvt_pk_fp8_f32 v56, v58, v59 op_sel:[0,0,1]              // 0000000075F8: D2A24038 0002773A
	v_pk_mul_f32 v[68:69], v[4:5], v[68:69]                    // 000000007600: D3B14044 18028904
	v_pk_mul_f32 v[70:71], v[4:5], v[70:71]                    // 000000007608: D3B14046 18028D04
	v_cvt_pk_fp8_f32 v68, v68, v69                             // 000000007610: D2A20044 00028B44
	v_cvt_pk_fp8_f32 v68, v70, v71 op_sel:[0,0,1]              // 000000007618: D2A24044 00028F46
	v_rcp_f32_e32 v101, v101                                   // 000000007620: 7ECA4565
	v_mov_b32_e32 v104, 0x358637bd                             // 000000007624: 7ED002FF 358637BD
	v_max3_f32 v104, |v80|, |v81|, v104                        // 00000000762C: D1D30368 05A2A350
	v_max3_f32 v104, |v82|, |v83|, v104                        // 000000007634: D1D30368 05A2A752
	v_max3_f32 v104, |v92|, |v93|, v104                        // 00000000763C: D1D30368 05A2BB5C
	v_max3_f32 v104, |v94|, |v95|, v104                        // 000000007644: D1D30368 05A2BF5E
	ds_write_b32 v106, v104                                    // 00000000764C: D81A0000 0000686A
	s_waitcnt lgkmcnt(0)                                       // 000000007654: BF8CC07F
	s_barrier                                                  // 000000007658: BF8A0000
	ds_read_b32 v4, v107                                       // 00000000765C: D86C0000 0400006B
	ds_read_b32 v5, v107 offset:64                             // 000000007664: D86C0040 0500006B
	ds_read_b32 v6, v107 offset:128                            // 00000000766C: D86C0080 0600006B
	ds_read_b32 v7, v107 offset:192                            // 000000007674: D86C00C0 0700006B
	ds_read_b32 v8, v107 offset:256                            // 00000000767C: D86C0100 0800006B
	ds_read_b32 v9, v107 offset:320                            // 000000007684: D86C0140 0900006B
	ds_read_b32 v10, v107 offset:384                           // 00000000768C: D86C0180 0A00006B
	ds_read_b32 v11, v107 offset:448                           // 000000007694: D86C01C0 0B00006B
	ds_read_b32 v12, v107 offset:512                           // 00000000769C: D86C0200 0C00006B
	ds_read_b32 v13, v107 offset:576                           // 0000000076A4: D86C0240 0D00006B
	ds_read_b32 v14, v107 offset:640                           // 0000000076AC: D86C0280 0E00006B
	ds_read_b32 v15, v107 offset:704                           // 0000000076B4: D86C02C0 0F00006B
	ds_read_b32 v16, v107 offset:768                           // 0000000076BC: D86C0300 1000006B
	ds_read_b32 v17, v107 offset:832                           // 0000000076C4: D86C0340 1100006B
	ds_read_b32 v18, v107 offset:896                           // 0000000076CC: D86C0380 1200006B
	ds_read_b32 v19, v107 offset:960                           // 0000000076D4: D86C03C0 1300006B
	s_waitcnt lgkmcnt(0)                                       // 0000000076DC: BF8CC07F
	s_barrier                                                  // 0000000076E0: BF8A0000
	v_max3_f32 v104, |v4|, |v5|, v104                          // 0000000076E4: D1D30368 05A20B04
	v_max3_f32 v104, |v6|, |v7|, v104                          // 0000000076EC: D1D30368 05A20F06
	v_max3_f32 v104, |v8|, |v9|, v104                          // 0000000076F4: D1D30368 05A21308
	v_max3_f32 v104, |v10|, |v11|, v104                        // 0000000076FC: D1D30368 05A2170A
	v_max3_f32 v104, |v12|, |v13|, v104                        // 000000007704: D1D30368 05A21B0C
	v_max3_f32 v104, |v14|, |v15|, v104                        // 00000000770C: D1D30368 05A21F0E
	v_max3_f32 v104, |v16|, |v17|, v104                        // 000000007714: D1D30368 05A22310
	v_max3_f32 v104, |v18|, |v19|, v104                        // 00000000771C: D1D30368 05A22712
	v_rcp_f32_e32 v104, v104                                   // 000000007724: 7ED04568
	v_mov_b32_e32 v4, 0x43700000                               // 000000007728: 7E0802FF 43700000
	v_mul_f32_e32 v104, v4, v104                               // 000000007730: 0AD0D104
	v_mov_b32_e32 v4, v104                                     // 000000007734: 7E080368
	v_mov_b32_e32 v5, v4                                       // 000000007738: 7E0A0304
	v_pk_mul_f32 v[80:81], v[4:5], v[80:81]                    // 00000000773C: D3B14050 1802A104
	v_pk_mul_f32 v[82:83], v[4:5], v[82:83]                    // 000000007744: D3B14052 1802A504
	v_cvt_pk_fp8_f32 v80, v80, v81                             // 00000000774C: D2A20050 0002A350
	v_cvt_pk_fp8_f32 v80, v82, v83 op_sel:[0,0,1]              // 000000007754: D2A24050 0002A752
	v_pk_mul_f32 v[92:93], v[4:5], v[92:93]                    // 00000000775C: D3B1405C 1802B904
	v_pk_mul_f32 v[94:95], v[4:5], v[94:95]                    // 000000007764: D3B1405E 1802BD04
	v_cvt_pk_fp8_f32 v92, v92, v93                             // 00000000776C: D2A2005C 0002BB5C
	v_cvt_pk_fp8_f32 v92, v94, v95 op_sel:[0,0,1]              // 000000007774: D2A2405C 0002BF5E
	v_rcp_f32_e32 v104, v104                                   // 00000000777C: 7ED04568
	v_mov_b32_e32 v102, 0x358637bd                             // 000000007780: 7ECC02FF 358637BD
	v_max3_f32 v102, |v60|, |v61|, v102                        // 000000007788: D1D30366 059A7B3C
	v_max3_f32 v102, |v62|, |v63|, v102                        // 000000007790: D1D30366 059A7F3E
	v_max3_f32 v102, |v72|, |v73|, v102                        // 000000007798: D1D30366 059A9348
	v_max3_f32 v102, |v74|, |v75|, v102                        // 0000000077A0: D1D30366 059A974A
	ds_write_b32 v106, v102                                    // 0000000077A8: D81A0000 0000666A
	s_waitcnt lgkmcnt(0)                                       // 0000000077B0: BF8CC07F
	s_barrier                                                  // 0000000077B4: BF8A0000
	ds_read_b32 v4, v107                                       // 0000000077B8: D86C0000 0400006B
	ds_read_b32 v5, v107 offset:64                             // 0000000077C0: D86C0040 0500006B
	ds_read_b32 v6, v107 offset:128                            // 0000000077C8: D86C0080 0600006B
	ds_read_b32 v7, v107 offset:192                            // 0000000077D0: D86C00C0 0700006B
	ds_read_b32 v8, v107 offset:256                            // 0000000077D8: D86C0100 0800006B
	ds_read_b32 v9, v107 offset:320                            // 0000000077E0: D86C0140 0900006B
	ds_read_b32 v10, v107 offset:384                           // 0000000077E8: D86C0180 0A00006B
	ds_read_b32 v11, v107 offset:448                           // 0000000077F0: D86C01C0 0B00006B
	ds_read_b32 v12, v107 offset:512                           // 0000000077F8: D86C0200 0C00006B
	ds_read_b32 v13, v107 offset:576                           // 000000007800: D86C0240 0D00006B
	ds_read_b32 v14, v107 offset:640                           // 000000007808: D86C0280 0E00006B
	ds_read_b32 v15, v107 offset:704                           // 000000007810: D86C02C0 0F00006B
	ds_read_b32 v16, v107 offset:768                           // 000000007818: D86C0300 1000006B
	ds_read_b32 v17, v107 offset:832                           // 000000007820: D86C0340 1100006B
	ds_read_b32 v18, v107 offset:896                           // 000000007828: D86C0380 1200006B
	ds_read_b32 v19, v107 offset:960                           // 000000007830: D86C03C0 1300006B
	s_waitcnt lgkmcnt(0)                                       // 000000007838: BF8CC07F
	s_barrier                                                  // 00000000783C: BF8A0000
	v_max3_f32 v102, |v4|, |v5|, v102                          // 000000007840: D1D30366 059A0B04
	v_max3_f32 v102, |v6|, |v7|, v102                          // 000000007848: D1D30366 059A0F06
	v_max3_f32 v102, |v8|, |v9|, v102                          // 000000007850: D1D30366 059A1308
	v_max3_f32 v102, |v10|, |v11|, v102                        // 000000007858: D1D30366 059A170A
	v_max3_f32 v102, |v12|, |v13|, v102                        // 000000007860: D1D30366 059A1B0C
	v_max3_f32 v102, |v14|, |v15|, v102                        // 000000007868: D1D30366 059A1F0E
	v_max3_f32 v102, |v16|, |v17|, v102                        // 000000007870: D1D30366 059A2310
	v_max3_f32 v102, |v18|, |v19|, v102                        // 000000007878: D1D30366 059A2712
	v_rcp_f32_e32 v102, v102                                   // 000000007880: 7ECC4566
	v_mov_b32_e32 v4, 0x43700000                               // 000000007884: 7E0802FF 43700000
	v_mul_f32_e32 v102, v4, v102                               // 00000000788C: 0ACCCD04
	v_mov_b32_e32 v4, v102                                     // 000000007890: 7E080366
	v_mov_b32_e32 v5, v4                                       // 000000007894: 7E0A0304
	v_pk_mul_f32 v[60:61], v[4:5], v[60:61]                    // 000000007898: D3B1403C 18027904
	v_pk_mul_f32 v[62:63], v[4:5], v[62:63]                    // 0000000078A0: D3B1403E 18027D04
	v_cvt_pk_fp8_f32 v60, v60, v61                             // 0000000078A8: D2A2003C 00027B3C
	v_cvt_pk_fp8_f32 v60, v62, v63 op_sel:[0,0,1]              // 0000000078B0: D2A2403C 00027F3E
	v_pk_mul_f32 v[72:73], v[4:5], v[72:73]                    // 0000000078B8: D3B14048 18029104
	v_pk_mul_f32 v[74:75], v[4:5], v[74:75]                    // 0000000078C0: D3B1404A 18029504
	v_cvt_pk_fp8_f32 v72, v72, v73                             // 0000000078C8: D2A20048 00029348
	v_cvt_pk_fp8_f32 v72, v74, v75 op_sel:[0,0,1]              // 0000000078D0: D2A24048 0002974A
	v_rcp_f32_e32 v102, v102                                   // 0000000078D8: 7ECC4566
	v_mov_b32_e32 v105, 0x358637bd                             // 0000000078DC: 7ED202FF 358637BD
	v_max3_f32 v105, |v84|, |v85|, v105                        // 0000000078E4: D1D30369 05A6AB54
	v_max3_f32 v105, |v86|, |v87|, v105                        // 0000000078EC: D1D30369 05A6AF56
	v_max3_f32 v105, |v96|, |v97|, v105                        // 0000000078F4: D1D30369 05A6C360
	v_max3_f32 v105, |v98|, |v99|, v105                        // 0000000078FC: D1D30369 05A6C762
	ds_write_b32 v106, v105                                    // 000000007904: D81A0000 0000696A
	s_waitcnt lgkmcnt(0)                                       // 00000000790C: BF8CC07F
	s_barrier                                                  // 000000007910: BF8A0000
	ds_read_b32 v4, v107                                       // 000000007914: D86C0000 0400006B
	ds_read_b32 v5, v107 offset:64                             // 00000000791C: D86C0040 0500006B
	ds_read_b32 v6, v107 offset:128                            // 000000007924: D86C0080 0600006B
	ds_read_b32 v7, v107 offset:192                            // 00000000792C: D86C00C0 0700006B
	ds_read_b32 v8, v107 offset:256                            // 000000007934: D86C0100 0800006B
	ds_read_b32 v9, v107 offset:320                            // 00000000793C: D86C0140 0900006B
	ds_read_b32 v10, v107 offset:384                           // 000000007944: D86C0180 0A00006B
	ds_read_b32 v11, v107 offset:448                           // 00000000794C: D86C01C0 0B00006B
	ds_read_b32 v12, v107 offset:512                           // 000000007954: D86C0200 0C00006B
	ds_read_b32 v13, v107 offset:576                           // 00000000795C: D86C0240 0D00006B
	ds_read_b32 v14, v107 offset:640                           // 000000007964: D86C0280 0E00006B
	ds_read_b32 v15, v107 offset:704                           // 00000000796C: D86C02C0 0F00006B
	ds_read_b32 v16, v107 offset:768                           // 000000007974: D86C0300 1000006B
	ds_read_b32 v17, v107 offset:832                           // 00000000797C: D86C0340 1100006B
	ds_read_b32 v18, v107 offset:896                           // 000000007984: D86C0380 1200006B
	ds_read_b32 v19, v107 offset:960                           // 00000000798C: D86C03C0 1300006B
	s_waitcnt lgkmcnt(0)                                       // 000000007994: BF8CC07F
	s_barrier                                                  // 000000007998: BF8A0000
	v_max3_f32 v105, |v4|, |v5|, v105                          // 00000000799C: D1D30369 05A60B04
	v_max3_f32 v105, |v6|, |v7|, v105                          // 0000000079A4: D1D30369 05A60F06
	v_max3_f32 v105, |v8|, |v9|, v105                          // 0000000079AC: D1D30369 05A61308
	v_max3_f32 v105, |v10|, |v11|, v105                        // 0000000079B4: D1D30369 05A6170A
	v_max3_f32 v105, |v12|, |v13|, v105                        // 0000000079BC: D1D30369 05A61B0C
	v_max3_f32 v105, |v14|, |v15|, v105                        // 0000000079C4: D1D30369 05A61F0E
	v_max3_f32 v105, |v16|, |v17|, v105                        // 0000000079CC: D1D30369 05A62310
	v_max3_f32 v105, |v18|, |v19|, v105                        // 0000000079D4: D1D30369 05A62712
	v_rcp_f32_e32 v105, v105                                   // 0000000079DC: 7ED24569
	v_mov_b32_e32 v4, 0x43700000                               // 0000000079E0: 7E0802FF 43700000
	v_mul_f32_e32 v105, v4, v105                               // 0000000079E8: 0AD2D304
	v_mov_b32_e32 v4, v105                                     // 0000000079EC: 7E080369
	v_mov_b32_e32 v5, v4                                       // 0000000079F0: 7E0A0304
	v_pk_mul_f32 v[84:85], v[4:5], v[84:85]                    // 0000000079F4: D3B14054 1802A904
	v_pk_mul_f32 v[86:87], v[4:5], v[86:87]                    // 0000000079FC: D3B14056 1802AD04
	v_cvt_pk_fp8_f32 v84, v84, v85                             // 000000007A04: D2A20054 0002AB54
	v_cvt_pk_fp8_f32 v84, v86, v87 op_sel:[0,0,1]              // 000000007A0C: D2A24054 0002AF56
	v_pk_mul_f32 v[96:97], v[4:5], v[96:97]                    // 000000007A14: D3B14060 1802C104
	v_pk_mul_f32 v[98:99], v[4:5], v[98:99]                    // 000000007A1C: D3B14062 1802C504
	v_cvt_pk_fp8_f32 v96, v96, v97                             // 000000007A24: D2A20060 0002C360
	v_cvt_pk_fp8_f32 v96, v98, v99 op_sel:[0,0,1]              // 000000007A2C: D2A24060 0002C762
	v_rcp_f32_e32 v105, v105                                   // 000000007A34: 7ED24569
	v_lshrrev_b32_e32 v4, 5, v0                                // 000000007A38: 20080085
	v_mul_lo_u32 v20, 34, v4                                   // 000000007A3C: D2850014 000208A2
	v_and_b32_e32 v4, 31, v0                                   // 000000007A44: 2608009F
	v_lshrrev_b32_e32 v5, 4, v4                                // 000000007A48: 200A0884
	v_add_u32_e32 v20, v5, v20                                 // 000000007A4C: 68282905
	v_and_b32_e32 v4, 15, v0                                   // 000000007A50: 2608008F
	v_mul_lo_u32 v5, 2, v4                                     // 000000007A54: D2850005 00020882
	v_add_u32_e32 v20, v5, v20                                 // 000000007A5C: 68282905
	s_mul_i32 s60, s7, 0x44                                    // 000000007A60: 923CFF07 00000044
	v_add_u32_e32 v20, s60, v20                                // 000000007A68: 6828283C
	v_lshlrev_b32_e32 v20, 2, v20                              // 000000007A6C: 24282882
	ds_write_b32 v20, v52                                      // 000000007A70: D81A0000 00003414
	ds_write_b32 v20, v56 offset:4352                          // 000000007A78: D81A1100 00003814
	ds_write_b32 v20, v60 offset:8704                          // 000000007A80: D81A2200 00003C14
	ds_write_b32 v20, v64 offset:1088                          // 000000007A88: D81A0440 00004014
	ds_write_b32 v20, v68 offset:5440                          // 000000007A90: D81A1540 00004414
	ds_write_b32 v20, v72 offset:9792                          // 000000007A98: D81A2640 00004814
	ds_write_b32 v20, v76 offset:2176                          // 000000007AA0: D81A0880 00004C14
	ds_write_b32 v20, v80 offset:6528                          // 000000007AA8: D81A1980 00005014
	ds_write_b32 v20, v84 offset:10880                         // 000000007AB0: D81A2A80 00005414
	ds_write_b32 v20, v88 offset:3264                          // 000000007AB8: D81A0CC0 00005814
	ds_write_b32 v20, v92 offset:7616                          // 000000007AC0: D81A1DC0 00005C14
	ds_write_b32 v20, v96 offset:11968                         // 000000007AC8: D81A2EC0 00006014
	v_lshrrev_b32_e32 v4, 5, v0                                // 000000007AD0: 20080085
	v_xor_b32_e32 v5, 1, v4                                    // 000000007AD4: 2A0A0881
	s_mul_i32 s60, s65, 1                                      // 000000007AD8: 923C8141
	s_cmp_eq_u32 s88, 0                                        // 000000007ADC: BF068058
	s_cselect_b32 s61, 1, 8                                    // 000000007AE0: 853D8881
	s_mul_i32 s60, s61, s60                                    // 000000007AE4: 923C3C3D
	v_readlane_b32 s82, v3, 0                                  // 000000007AE8: D2890052 00010103
	s_lshr_b32 s61, s82, 24                                    // 000000007AF0: 8F3D9852
	s_and_b32 s82, s82, 0xffffff                               // 000000007AF4: 8652FF52 00FFFFFF
	s_mul_i32 s82, s82, s71                                    // 000000007AFC: 92524752
	s_mul_i32 s61, s60, s61                                    // 000000007B00: 923D3D3C
	s_add_u32 s82, s82, s61                                    // 000000007B04: 80523D52
	v_mul_lo_u32 v6, v5, s82                                   // 000000007B08: D2850006 0000A505
	v_readlane_b32 s82, v3, 1                                  // 000000007B10: D2890052 00010303
	s_lshr_b32 s61, s82, 24                                    // 000000007B18: 8F3D9852
	s_and_b32 s82, s82, 0xffffff                               // 000000007B1C: 8652FF52 00FFFFFF
	s_mul_i32 s82, s82, s71                                    // 000000007B24: 92524752
	s_mul_i32 s61, s60, s61                                    // 000000007B28: 923D3D3C
	s_add_u32 s82, s82, s61                                    // 000000007B2C: 80523D52
	v_mul_lo_u32 v7, v4, s82                                   // 000000007B30: D2850007 0000A504
	v_add_u32_e32 v42, v6, v7                                  // 000000007B38: 68540F06
	v_readlane_b32 s82, v3, 2                                  // 000000007B3C: D2890052 00010503
	s_lshr_b32 s61, s82, 24                                    // 000000007B44: 8F3D9852
	s_and_b32 s82, s82, 0xffffff                               // 000000007B48: 8652FF52 00FFFFFF
	s_mul_i32 s82, s82, s71                                    // 000000007B50: 92524752
	s_mul_i32 s61, s60, s61                                    // 000000007B54: 923D3D3C
	s_add_u32 s82, s82, s61                                    // 000000007B58: 80523D52
	v_mul_lo_u32 v6, v5, s82                                   // 000000007B5C: D2850006 0000A505
	v_readlane_b32 s82, v3, 3                                  // 000000007B64: D2890052 00010703
	s_lshr_b32 s61, s82, 24                                    // 000000007B6C: 8F3D9852
	s_and_b32 s82, s82, 0xffffff                               // 000000007B70: 8652FF52 00FFFFFF
	s_mul_i32 s82, s82, s71                                    // 000000007B78: 92524752
	s_mul_i32 s61, s60, s61                                    // 000000007B7C: 923D3D3C
	s_add_u32 s82, s82, s61                                    // 000000007B80: 80523D52
	v_mul_lo_u32 v7, v4, s82                                   // 000000007B84: D2850007 0000A504
	v_add_u32_e32 v43, v6, v7                                  // 000000007B8C: 68560F06
	v_readlane_b32 s82, v3, 4                                  // 000000007B90: D2890052 00010903
	s_lshr_b32 s61, s82, 24                                    // 000000007B98: 8F3D9852
	s_and_b32 s82, s82, 0xffffff                               // 000000007B9C: 8652FF52 00FFFFFF
	s_mul_i32 s82, s82, s71                                    // 000000007BA4: 92524752
	s_mul_i32 s61, s60, s61                                    // 000000007BA8: 923D3D3C
	s_add_u32 s82, s82, s61                                    // 000000007BAC: 80523D52
	v_mul_lo_u32 v6, v5, s82                                   // 000000007BB0: D2850006 0000A505
	v_readlane_b32 s82, v3, 5                                  // 000000007BB8: D2890052 00010B03
	s_lshr_b32 s61, s82, 24                                    // 000000007BC0: 8F3D9852
	s_and_b32 s82, s82, 0xffffff                               // 000000007BC4: 8652FF52 00FFFFFF
	s_mul_i32 s82, s82, s71                                    // 000000007BCC: 92524752
	s_mul_i32 s61, s60, s61                                    // 000000007BD0: 923D3D3C
	s_add_u32 s82, s82, s61                                    // 000000007BD4: 80523D52
	v_mul_lo_u32 v7, v4, s82                                   // 000000007BD8: D2850007 0000A504
	v_add_u32_e32 v44, v6, v7                                  // 000000007BE0: 68580F06
	v_readlane_b32 s82, v3, 6                                  // 000000007BE4: D2890052 00010D03
	s_lshr_b32 s61, s82, 24                                    // 000000007BEC: 8F3D9852
	s_and_b32 s82, s82, 0xffffff                               // 000000007BF0: 8652FF52 00FFFFFF
	s_mul_i32 s82, s82, s71                                    // 000000007BF8: 92524752
	s_mul_i32 s61, s60, s61                                    // 000000007BFC: 923D3D3C
	s_add_u32 s82, s82, s61                                    // 000000007C00: 80523D52
	v_mul_lo_u32 v6, v5, s82                                   // 000000007C04: D2850006 0000A505
	v_readlane_b32 s82, v3, 7                                  // 000000007C0C: D2890052 00010F03
	s_lshr_b32 s61, s82, 24                                    // 000000007C14: 8F3D9852
	s_and_b32 s82, s82, 0xffffff                               // 000000007C18: 8652FF52 00FFFFFF
	s_mul_i32 s82, s82, s71                                    // 000000007C20: 92524752
	s_mul_i32 s61, s60, s61                                    // 000000007C24: 923D3D3C
	s_add_u32 s82, s82, s61                                    // 000000007C28: 80523D52
	v_mul_lo_u32 v7, v4, s82                                   // 000000007C2C: D2850007 0000A504
	v_add_u32_e32 v45, v6, v7                                  // 000000007C34: 685A0F06
	v_readlane_b32 s82, v3, 8                                  // 000000007C38: D2890052 00011103
	s_lshr_b32 s61, s82, 24                                    // 000000007C40: 8F3D9852
	s_and_b32 s82, s82, 0xffffff                               // 000000007C44: 8652FF52 00FFFFFF
	s_mul_i32 s82, s82, s71                                    // 000000007C4C: 92524752
	s_mul_i32 s61, s60, s61                                    // 000000007C50: 923D3D3C
	s_add_u32 s82, s82, s61                                    // 000000007C54: 80523D52
	v_mul_lo_u32 v6, v5, s82                                   // 000000007C58: D2850006 0000A505
	v_readlane_b32 s82, v3, 9                                  // 000000007C60: D2890052 00011303
	s_lshr_b32 s61, s82, 24                                    // 000000007C68: 8F3D9852
	s_and_b32 s82, s82, 0xffffff                               // 000000007C6C: 8652FF52 00FFFFFF
	s_mul_i32 s82, s82, s71                                    // 000000007C74: 92524752
	s_mul_i32 s61, s60, s61                                    // 000000007C78: 923D3D3C
	s_add_u32 s82, s82, s61                                    // 000000007C7C: 80523D52
	v_mul_lo_u32 v7, v4, s82                                   // 000000007C80: D2850007 0000A504
	v_add_u32_e32 v46, v6, v7                                  // 000000007C88: 685C0F06
	v_readlane_b32 s82, v3, 10                                 // 000000007C8C: D2890052 00011503
	s_lshr_b32 s61, s82, 24                                    // 000000007C94: 8F3D9852
	s_and_b32 s82, s82, 0xffffff                               // 000000007C98: 8652FF52 00FFFFFF
	s_mul_i32 s82, s82, s71                                    // 000000007CA0: 92524752
	s_mul_i32 s61, s60, s61                                    // 000000007CA4: 923D3D3C
	s_add_u32 s82, s82, s61                                    // 000000007CA8: 80523D52
	v_mul_lo_u32 v6, v5, s82                                   // 000000007CAC: D2850006 0000A505
	v_readlane_b32 s82, v3, 11                                 // 000000007CB4: D2890052 00011703
	s_lshr_b32 s61, s82, 24                                    // 000000007CBC: 8F3D9852
	s_and_b32 s82, s82, 0xffffff                               // 000000007CC0: 8652FF52 00FFFFFF
	s_mul_i32 s82, s82, s71                                    // 000000007CC8: 92524752
	s_mul_i32 s61, s60, s61                                    // 000000007CCC: 923D3D3C
	s_add_u32 s82, s82, s61                                    // 000000007CD0: 80523D52
	v_mul_lo_u32 v7, v4, s82                                   // 000000007CD4: D2850007 0000A504
	v_add_u32_e32 v47, v6, v7                                  // 000000007CDC: 685E0F06
	v_and_b32_e32 v4, 31, v0                                   // 000000007CE0: 2608009F
	v_lshrrev_b32_e32 v4, 1, v4                                // 000000007CE4: 20080881
	s_cmp_eq_u32 s88, 0                                        // 000000007CE8: BF068058
	s_cselect_b32 s61, 2, 4                                    // 000000007CEC: 853D8482
	v_mul_lo_u32 v4, v4, s61                                   // 000000007CF0: D2850004 00007B04
	v_and_b32_e64 v5, v0, 1                                    // 000000007CF8: D1130005 00010300
	v_add_u32_e32 v4, v4, v5                                   // 000000007D00: 68080B04
	v_lshlrev_b32_e32 v4, 2, v4                                // 000000007D04: 24080882
	v_add_u32_e32 v42, v42, v4                                 // 000000007D08: 6854092A
	v_add_u32_e32 v43, v43, v4                                 // 000000007D0C: 6856092B
	v_add_u32_e32 v44, v44, v4                                 // 000000007D10: 6858092C
	v_add_u32_e32 v45, v45, v4                                 // 000000007D14: 685A092D
	v_add_u32_e32 v46, v46, v4                                 // 000000007D18: 685C092E
	v_add_u32_e32 v47, v47, v4                                 // 000000007D1C: 685E092F
	s_waitcnt lgkmcnt(0)                                       // 000000007D20: BF8CC07F
	s_barrier                                                  // 000000007D24: BF8A0000
	ds_read_b32 v52, v21                                       // 000000007D28: D86C0000 34000015
	ds_read_b32 v53, v21 offset:64                             // 000000007D30: D86C0040 35000015
	ds_read_b32 v54, v21 offset:2176                           // 000000007D38: D86C0880 36000015
	ds_read_b32 v55, v21 offset:2240                           // 000000007D40: D86C08C0 37000015
	ds_read_b32 v56, v21 offset:4352                           // 000000007D48: D86C1100 38000015
	ds_read_b32 v57, v21 offset:4416                           // 000000007D50: D86C1140 39000015
	ds_read_b32 v58, v21 offset:6528                           // 000000007D58: D86C1980 3A000015
	ds_read_b32 v59, v21 offset:6592                           // 000000007D60: D86C19C0 3B000015
	ds_read_b32 v60, v21 offset:8704                           // 000000007D68: D86C2200 3C000015
	ds_read_b32 v61, v21 offset:8768                           // 000000007D70: D86C2240 3D000015
	ds_read_b32 v62, v21 offset:10880                          // 000000007D78: D86C2A80 3E000015
	ds_read_b32 v63, v21 offset:10944                          // 000000007D80: D86C2AC0 3F000015
	s_waitcnt lgkmcnt(0)                                       // 000000007D88: BF8CC07F
	s_mov_b32 s36, -1                                          // 000000007D8C: BEA400C1
	s_mov_b32 s37, -1                                          // 000000007D90: BEA500C1
	v_mov_b32_e32 v7, 0                                        // 000000007D94: 7E0E0280
	s_or_b32 s9, s9, 0x40000                                   // 000000007D98: 8709FF09 00040000
	s_mov_b64 exec, s[36:37]                                   // 000000007DA0: BEFE0124
	v_mov_b32_e32 v6, v42                                      // 000000007DA4: 7E0C032A
	s_mov_b64 s[60:61], 0                                      // 000000007DA8: BEBC0180
	v_readlane_b32 s82, v3, 0                                  // 000000007DAC: D2890052 00010103
	s_and_b32 s82, s82, 0xffffff                               // 000000007DB4: 8652FF52 00FFFFFF
	s_cmp_lt_u32 s82, s66                                      // 000000007DBC: BF0A4252
	s_cselect_b32 s20, s36, s60                                // 000000007DC0: 85143C24
	v_readlane_b32 s82, v3, 1                                  // 000000007DC4: D2890052 00010303
	s_and_b32 s82, s82, 0xffffff                               // 000000007DCC: 8652FF52 00FFFFFF
	s_cmp_lt_u32 s82, s66                                      // 000000007DD4: BF0A4252
	s_cselect_b32 s21, s36, s60                                // 000000007DD8: 85153C24
	s_mov_b64 exec, s[20:21]                                   // 000000007DDC: BEFE0114
	buffer_store_dword v52, v6, s[8:11], 0 offen               // 000000007DE0: E0701000 80023406
	buffer_store_dword v54, v6, s[8:11], 0 offen offset:128    // 000000007DE8: E0701080 80023606
	s_mov_b64 exec, s[36:37]                                   // 000000007DF0: BEFE0124
	v_mov_b32_e32 v6, v43                                      // 000000007DF4: 7E0C032B
	s_mov_b64 s[60:61], 0                                      // 000000007DF8: BEBC0180
	v_readlane_b32 s82, v3, 2                                  // 000000007DFC: D2890052 00010503
	s_and_b32 s82, s82, 0xffffff                               // 000000007E04: 8652FF52 00FFFFFF
	s_cmp_lt_u32 s82, s66                                      // 000000007E0C: BF0A4252
	s_cselect_b32 s20, s36, s60                                // 000000007E10: 85143C24
	v_readlane_b32 s82, v3, 3                                  // 000000007E14: D2890052 00010703
	s_and_b32 s82, s82, 0xffffff                               // 000000007E1C: 8652FF52 00FFFFFF
	s_cmp_lt_u32 s82, s66                                      // 000000007E24: BF0A4252
	s_cselect_b32 s21, s36, s60                                // 000000007E28: 85153C24
	s_mov_b64 exec, s[20:21]                                   // 000000007E2C: BEFE0114
	buffer_store_dword v53, v6, s[8:11], 0 offen               // 000000007E30: E0701000 80023506
	buffer_store_dword v55, v6, s[8:11], 0 offen offset:128    // 000000007E38: E0701080 80023706
	s_mov_b64 exec, s[36:37]                                   // 000000007E40: BEFE0124
	v_mov_b32_e32 v6, v44                                      // 000000007E44: 7E0C032C
	s_mov_b64 s[60:61], 0                                      // 000000007E48: BEBC0180
	v_readlane_b32 s82, v3, 4                                  // 000000007E4C: D2890052 00010903
	s_and_b32 s82, s82, 0xffffff                               // 000000007E54: 8652FF52 00FFFFFF
	s_cmp_lt_u32 s82, s66                                      // 000000007E5C: BF0A4252
	s_cselect_b32 s20, s36, s60                                // 000000007E60: 85143C24
	v_readlane_b32 s82, v3, 5                                  // 000000007E64: D2890052 00010B03
	s_and_b32 s82, s82, 0xffffff                               // 000000007E6C: 8652FF52 00FFFFFF
	s_cmp_lt_u32 s82, s66                                      // 000000007E74: BF0A4252
	s_cselect_b32 s21, s36, s60                                // 000000007E78: 85153C24
	s_mov_b64 exec, s[20:21]                                   // 000000007E7C: BEFE0114
	buffer_store_dword v56, v6, s[8:11], 0 offen               // 000000007E80: E0701000 80023806
	buffer_store_dword v58, v6, s[8:11], 0 offen offset:128    // 000000007E88: E0701080 80023A06
	s_mov_b64 exec, s[36:37]                                   // 000000007E90: BEFE0124
	v_mov_b32_e32 v6, v45                                      // 000000007E94: 7E0C032D
	s_mov_b64 s[60:61], 0                                      // 000000007E98: BEBC0180
	v_readlane_b32 s82, v3, 6                                  // 000000007E9C: D2890052 00010D03
	s_and_b32 s82, s82, 0xffffff                               // 000000007EA4: 8652FF52 00FFFFFF
	s_cmp_lt_u32 s82, s66                                      // 000000007EAC: BF0A4252
	s_cselect_b32 s20, s36, s60                                // 000000007EB0: 85143C24
	v_readlane_b32 s82, v3, 7                                  // 000000007EB4: D2890052 00010F03
	s_and_b32 s82, s82, 0xffffff                               // 000000007EBC: 8652FF52 00FFFFFF
	s_cmp_lt_u32 s82, s66                                      // 000000007EC4: BF0A4252
	s_cselect_b32 s21, s36, s60                                // 000000007EC8: 85153C24
	s_mov_b64 exec, s[20:21]                                   // 000000007ECC: BEFE0114
	buffer_store_dword v57, v6, s[8:11], 0 offen               // 000000007ED0: E0701000 80023906
	buffer_store_dword v59, v6, s[8:11], 0 offen offset:128    // 000000007ED8: E0701080 80023B06
	s_mov_b64 exec, s[36:37]                                   // 000000007EE0: BEFE0124
	v_mov_b32_e32 v6, v46                                      // 000000007EE4: 7E0C032E
	s_mov_b64 s[60:61], 0                                      // 000000007EE8: BEBC0180
	v_readlane_b32 s82, v3, 8                                  // 000000007EEC: D2890052 00011103
	s_and_b32 s82, s82, 0xffffff                               // 000000007EF4: 8652FF52 00FFFFFF
	s_cmp_lt_u32 s82, s66                                      // 000000007EFC: BF0A4252
	s_cselect_b32 s20, s36, s60                                // 000000007F00: 85143C24
	v_readlane_b32 s82, v3, 9                                  // 000000007F04: D2890052 00011303
	s_and_b32 s82, s82, 0xffffff                               // 000000007F0C: 8652FF52 00FFFFFF
	s_cmp_lt_u32 s82, s66                                      // 000000007F14: BF0A4252
	s_cselect_b32 s21, s36, s60                                // 000000007F18: 85153C24
	s_mov_b64 exec, s[20:21]                                   // 000000007F1C: BEFE0114
	buffer_store_dword v60, v6, s[8:11], 0 offen               // 000000007F20: E0701000 80023C06
	buffer_store_dword v62, v6, s[8:11], 0 offen offset:128    // 000000007F28: E0701080 80023E06
	s_mov_b64 exec, s[36:37]                                   // 000000007F30: BEFE0124
	v_mov_b32_e32 v6, v47                                      // 000000007F34: 7E0C032F
	s_mov_b64 s[60:61], 0                                      // 000000007F38: BEBC0180
	v_readlane_b32 s82, v3, 10                                 // 000000007F3C: D2890052 00011503
	s_and_b32 s82, s82, 0xffffff                               // 000000007F44: 8652FF52 00FFFFFF
	s_cmp_lt_u32 s82, s66                                      // 000000007F4C: BF0A4252
	s_cselect_b32 s20, s36, s60                                // 000000007F50: 85143C24
	v_readlane_b32 s82, v3, 11                                 // 000000007F54: D2890052 00011703
	s_and_b32 s82, s82, 0xffffff                               // 000000007F5C: 8652FF52 00FFFFFF
	s_cmp_lt_u32 s82, s66                                      // 000000007F64: BF0A4252
	s_cselect_b32 s21, s36, s60                                // 000000007F68: 85153C24
	s_mov_b64 exec, s[20:21]                                   // 000000007F6C: BEFE0114
	buffer_store_dword v61, v6, s[8:11], 0 offen               // 000000007F70: E0701000 80023D06
	buffer_store_dword v63, v6, s[8:11], 0 offen offset:128    // 000000007F78: E0701080 80023F06
	s_mov_b64 exec, s[36:37]                                   // 000000007F80: BEFE0124
	s_cmp_eq_u32 s7, 0                                         // 000000007F84: BF068007
	s_cbranch_scc0 label_30DE                                  // 000000007F88: BF841B78
	s_waitcnt vmcnt(12)                                        // 000000007F8C: BF8C0F7C
	s_mov_b32 s8, s90                                          // 000000007F90: BE88005A
	s_mov_b32 s9, s91                                          // 000000007F94: BE89005B
	s_mul_i32 s60, s66, s71                                    // 000000007F98: 923C4742
	s_add_u32 s8, s60, s8                                      // 000000007F9C: 8008083C
	s_addc_u32 s9, 0, s9                                       // 000000007FA0: 82090980
	s_lshr_b32 s71, s71, 5                                     // 000000007FA4: 8F478547
	s_mul_i32 s60, s66, s71                                    // 000000007FA8: 923C4742
	s_mov_b32 s10, s60                                         // 000000007FAC: BE8A003C
	s_lshr_b32 s61, s65, 5                                     // 000000007FB0: 8F3D8541
	s_mul_i32 s60, s2, 8                                       // 000000007FB4: 923C8802
	v_lshrrev_b32_e32 v4, 24, v30                              // 000000007FB8: 20083C98
	v_mul_lo_u32 v4, s61, v4                                   // 000000007FBC: D2850004 0002083D
	v_and_b32_e32 v30, 0xffffff, v30                           // 000000007FC4: 263C3CFF 00FFFFFF
	v_mul_lo_u32 v30, s71, v30                                 // 000000007FCC: D285001E 00023C47
	v_add_u32_e32 v30, v4, v30                                 // 000000007FD4: 683C3D04
	v_add_u32_e32 v30, s60, v30                                // 000000007FD8: 683C3C3C
	v_lshrrev_b32_e32 v4, 24, v31                              // 000000007FDC: 20083E98
	v_mul_lo_u32 v4, s61, v4                                   // 000000007FE0: D2850004 0002083D
	v_and_b32_e32 v31, 0xffffff, v31                           // 000000007FE8: 263E3EFF 00FFFFFF
	v_mul_lo_u32 v31, s71, v31                                 // 000000007FF0: D285001F 00023E47
	v_add_u32_e32 v31, v4, v31                                 // 000000007FF8: 683E3F04
	v_add_u32_e32 v31, s60, v31                                // 000000007FFC: 683E3E3C
	v_lshrrev_b32_e32 v4, 24, v32                              // 000000008000: 20084098
	v_mul_lo_u32 v4, s61, v4                                   // 000000008004: D2850004 0002083D
	v_and_b32_e32 v32, 0xffffff, v32                           // 00000000800C: 264040FF 00FFFFFF
	v_mul_lo_u32 v32, s71, v32                                 // 000000008014: D2850020 00024047
	v_add_u32_e32 v32, v4, v32                                 // 00000000801C: 68404104
	v_add_u32_e32 v32, s60, v32                                // 000000008020: 6840403C
	s_mov_b64 exec, 0xffff                                     // 000000008024: BEFE01FF 0000FFFF
	buffer_store_dword v100, v30, s[8:11], 0 offen             // 00000000802C: E0701000 8002641E
	buffer_store_dword v103, v30, s[8:11], 0 offen offset:4    // 000000008034: E0701004 8002671E
	buffer_store_dword v101, v31, s[8:11], 0 offen             // 00000000803C: E0701000 8002651F
	buffer_store_dword v104, v31, s[8:11], 0 offen offset:4    // 000000008044: E0701004 8002681F
	buffer_store_dword v102, v32, s[8:11], 0 offen             // 00000000804C: E0701000 80026620
	buffer_store_dword v105, v32, s[8:11], 0 offen offset:4    // 000000008054: E0701004 80026920
	s_mov_b64 exec, s[36:37]                                   // 00000000805C: BEFE0124
	s_branch label_30DE                                        // 000000008060: BF821B42

0000000000008064 <label_1599>:
	ds_write_b64 v20, v[52:53]                                 // 000000008064: D89A0000 00003414
	ds_write_b64 v20, v[56:57] offset:8704                     // 00000000806C: D89A2200 00003814
	ds_write_b64 v20, v[60:61] offset:17408                    // 000000008074: D89A4400 00003C14
	ds_write_b64 v20, v[64:65] offset:2176                     // 00000000807C: D89A0880 00004014
	ds_write_b64 v20, v[68:69] offset:10880                    // 000000008084: D89A2A80 00004414
	ds_write_b64 v20, v[72:73] offset:19584                    // 00000000808C: D89A4C80 00004814
	ds_write_b64 v20, v[76:77] offset:4352                     // 000000008094: D89A1100 00004C14
	ds_write_b64 v20, v[80:81] offset:13056                    // 00000000809C: D89A3300 00005014
	ds_write_b64 v20, v[84:85] offset:21760                    // 0000000080A4: D89A5500 00005414
	ds_write_b64 v20, v[88:89] offset:6528                     // 0000000080AC: D89A1980 00005814
	ds_write_b64 v20, v[92:93] offset:15232                    // 0000000080B4: D89A3B80 00005C14
	ds_write_b64 v20, v[96:97] offset:23936                    // 0000000080BC: D89A5D80 00006014
	v_lshrrev_b32_e32 v4, 5, v0                                // 0000000080C4: 20080085
	v_xor_b32_e32 v5, 1, v4                                    // 0000000080C8: 2A0A0881
	s_mul_i32 s60, s65, 1                                      // 0000000080CC: 923C8141
	s_cmp_eq_u32 s88, 0                                        // 0000000080D0: BF068058
	s_cselect_b32 s61, 1, 8                                    // 0000000080D4: 853D8881
	s_mul_i32 s60, s61, s60                                    // 0000000080D8: 923C3C3D
	v_readlane_b32 s82, v3, 0                                  // 0000000080DC: D2890052 00010103
	s_lshr_b32 s61, s82, 24                                    // 0000000080E4: 8F3D9852
	s_and_b32 s82, s82, 0xffffff                               // 0000000080E8: 8652FF52 00FFFFFF
	s_mul_i32 s82, s82, s71                                    // 0000000080F0: 92524752
	s_mul_i32 s61, s60, s61                                    // 0000000080F4: 923D3D3C
	s_add_u32 s82, s82, s61                                    // 0000000080F8: 80523D52
	v_mul_lo_u32 v6, v5, s82                                   // 0000000080FC: D2850006 0000A505
	v_readlane_b32 s82, v3, 1                                  // 000000008104: D2890052 00010303
	s_lshr_b32 s61, s82, 24                                    // 00000000810C: 8F3D9852
	s_and_b32 s82, s82, 0xffffff                               // 000000008110: 8652FF52 00FFFFFF
	s_mul_i32 s82, s82, s71                                    // 000000008118: 92524752
	s_mul_i32 s61, s60, s61                                    // 00000000811C: 923D3D3C
	s_add_u32 s82, s82, s61                                    // 000000008120: 80523D52
	v_mul_lo_u32 v7, v4, s82                                   // 000000008124: D2850007 0000A504
	v_add_u32_e32 v42, v6, v7                                  // 00000000812C: 68540F06
	v_readlane_b32 s82, v3, 2                                  // 000000008130: D2890052 00010503
	s_lshr_b32 s61, s82, 24                                    // 000000008138: 8F3D9852
	s_and_b32 s82, s82, 0xffffff                               // 00000000813C: 8652FF52 00FFFFFF
	s_mul_i32 s82, s82, s71                                    // 000000008144: 92524752
	s_mul_i32 s61, s60, s61                                    // 000000008148: 923D3D3C
	s_add_u32 s82, s82, s61                                    // 00000000814C: 80523D52
	v_mul_lo_u32 v6, v5, s82                                   // 000000008150: D2850006 0000A505
	v_readlane_b32 s82, v3, 3                                  // 000000008158: D2890052 00010703
	s_lshr_b32 s61, s82, 24                                    // 000000008160: 8F3D9852
	s_and_b32 s82, s82, 0xffffff                               // 000000008164: 8652FF52 00FFFFFF
	s_mul_i32 s82, s82, s71                                    // 00000000816C: 92524752
	s_mul_i32 s61, s60, s61                                    // 000000008170: 923D3D3C
	s_add_u32 s82, s82, s61                                    // 000000008174: 80523D52
	v_mul_lo_u32 v7, v4, s82                                   // 000000008178: D2850007 0000A504
	v_add_u32_e32 v43, v6, v7                                  // 000000008180: 68560F06
	v_readlane_b32 s82, v3, 4                                  // 000000008184: D2890052 00010903
	s_lshr_b32 s61, s82, 24                                    // 00000000818C: 8F3D9852
	s_and_b32 s82, s82, 0xffffff                               // 000000008190: 8652FF52 00FFFFFF
	s_mul_i32 s82, s82, s71                                    // 000000008198: 92524752
	s_mul_i32 s61, s60, s61                                    // 00000000819C: 923D3D3C
	s_add_u32 s82, s82, s61                                    // 0000000081A0: 80523D52
	v_mul_lo_u32 v6, v5, s82                                   // 0000000081A4: D2850006 0000A505
	v_readlane_b32 s82, v3, 5                                  // 0000000081AC: D2890052 00010B03
	s_lshr_b32 s61, s82, 24                                    // 0000000081B4: 8F3D9852
	s_and_b32 s82, s82, 0xffffff                               // 0000000081B8: 8652FF52 00FFFFFF
	s_mul_i32 s82, s82, s71                                    // 0000000081C0: 92524752
	s_mul_i32 s61, s60, s61                                    // 0000000081C4: 923D3D3C
	s_add_u32 s82, s82, s61                                    // 0000000081C8: 80523D52
	v_mul_lo_u32 v7, v4, s82                                   // 0000000081CC: D2850007 0000A504
	v_add_u32_e32 v44, v6, v7                                  // 0000000081D4: 68580F06
	v_readlane_b32 s82, v3, 6                                  // 0000000081D8: D2890052 00010D03
	s_lshr_b32 s61, s82, 24                                    // 0000000081E0: 8F3D9852
	s_and_b32 s82, s82, 0xffffff                               // 0000000081E4: 8652FF52 00FFFFFF
	s_mul_i32 s82, s82, s71                                    // 0000000081EC: 92524752
	s_mul_i32 s61, s60, s61                                    // 0000000081F0: 923D3D3C
	s_add_u32 s82, s82, s61                                    // 0000000081F4: 80523D52
	v_mul_lo_u32 v6, v5, s82                                   // 0000000081F8: D2850006 0000A505
	v_readlane_b32 s82, v3, 7                                  // 000000008200: D2890052 00010F03
	s_lshr_b32 s61, s82, 24                                    // 000000008208: 8F3D9852
	s_and_b32 s82, s82, 0xffffff                               // 00000000820C: 8652FF52 00FFFFFF
	s_mul_i32 s82, s82, s71                                    // 000000008214: 92524752
	s_mul_i32 s61, s60, s61                                    // 000000008218: 923D3D3C
	s_add_u32 s82, s82, s61                                    // 00000000821C: 80523D52
	v_mul_lo_u32 v7, v4, s82                                   // 000000008220: D2850007 0000A504
	v_add_u32_e32 v45, v6, v7                                  // 000000008228: 685A0F06
	v_readlane_b32 s82, v3, 8                                  // 00000000822C: D2890052 00011103
	s_lshr_b32 s61, s82, 24                                    // 000000008234: 8F3D9852
	s_and_b32 s82, s82, 0xffffff                               // 000000008238: 8652FF52 00FFFFFF
	s_mul_i32 s82, s82, s71                                    // 000000008240: 92524752
	s_mul_i32 s61, s60, s61                                    // 000000008244: 923D3D3C
	s_add_u32 s82, s82, s61                                    // 000000008248: 80523D52
	v_mul_lo_u32 v6, v5, s82                                   // 00000000824C: D2850006 0000A505
	v_readlane_b32 s82, v3, 9                                  // 000000008254: D2890052 00011303
	s_lshr_b32 s61, s82, 24                                    // 00000000825C: 8F3D9852
	s_and_b32 s82, s82, 0xffffff                               // 000000008260: 8652FF52 00FFFFFF
	s_mul_i32 s82, s82, s71                                    // 000000008268: 92524752
	s_mul_i32 s61, s60, s61                                    // 00000000826C: 923D3D3C
	s_add_u32 s82, s82, s61                                    // 000000008270: 80523D52
	v_mul_lo_u32 v7, v4, s82                                   // 000000008274: D2850007 0000A504
	v_add_u32_e32 v46, v6, v7                                  // 00000000827C: 685C0F06
	v_readlane_b32 s82, v3, 10                                 // 000000008280: D2890052 00011503
	s_lshr_b32 s61, s82, 24                                    // 000000008288: 8F3D9852
	s_and_b32 s82, s82, 0xffffff                               // 00000000828C: 8652FF52 00FFFFFF
	s_mul_i32 s82, s82, s71                                    // 000000008294: 92524752
	s_mul_i32 s61, s60, s61                                    // 000000008298: 923D3D3C
	s_add_u32 s82, s82, s61                                    // 00000000829C: 80523D52
	v_mul_lo_u32 v6, v5, s82                                   // 0000000082A0: D2850006 0000A505
	v_readlane_b32 s82, v3, 11                                 // 0000000082A8: D2890052 00011703
	s_lshr_b32 s61, s82, 24                                    // 0000000082B0: 8F3D9852
	s_and_b32 s82, s82, 0xffffff                               // 0000000082B4: 8652FF52 00FFFFFF
	s_mul_i32 s82, s82, s71                                    // 0000000082BC: 92524752
	s_mul_i32 s61, s60, s61                                    // 0000000082C0: 923D3D3C
	s_add_u32 s82, s82, s61                                    // 0000000082C4: 80523D52
	v_mul_lo_u32 v7, v4, s82                                   // 0000000082C8: D2850007 0000A504
	v_add_u32_e32 v47, v6, v7                                  // 0000000082D0: 685E0F06
	v_and_b32_e32 v4, 31, v0                                   // 0000000082D4: 2608009F
	v_lshrrev_b32_e32 v4, 1, v4                                // 0000000082D8: 20080881
	s_cmp_eq_u32 s88, 0                                        // 0000000082DC: BF068058
	s_cselect_b32 s61, 2, 4                                    // 0000000082E0: 853D8482
	v_mul_lo_u32 v4, v4, s61                                   // 0000000082E4: D2850004 00007B04
	v_and_b32_e64 v5, v0, 1                                    // 0000000082EC: D1130005 00010300
	v_add_u32_e32 v4, v4, v5                                   // 0000000082F4: 68080B04
	v_lshlrev_b32_e32 v4, 2, v4                                // 0000000082F8: 24080882
	v_add_u32_e32 v42, v42, v4                                 // 0000000082FC: 6854092A
	v_add_u32_e32 v43, v43, v4                                 // 000000008300: 6856092B
	v_add_u32_e32 v44, v44, v4                                 // 000000008304: 6858092C
	v_add_u32_e32 v45, v45, v4                                 // 000000008308: 685A092D
	v_add_u32_e32 v46, v46, v4                                 // 00000000830C: 685C092E
	v_add_u32_e32 v47, v47, v4                                 // 000000008310: 685E092F
	s_waitcnt lgkmcnt(0)                                       // 000000008314: BF8CC07F
	s_barrier                                                  // 000000008318: BF8A0000
	ds_read_b32 v52, v21                                       // 00000000831C: D86C0000 34000015
	ds_read_b32 v53, v21 offset:64                             // 000000008324: D86C0040 35000015
	ds_read_b32 v56, v21 offset:2176                           // 00000000832C: D86C0880 38000015
	ds_read_b32 v57, v21 offset:2240                           // 000000008334: D86C08C0 39000015
	ds_read_b32 v60, v21 offset:4352                           // 00000000833C: D86C1100 3C000015
	ds_read_b32 v61, v21 offset:4416                           // 000000008344: D86C1140 3D000015
	ds_read_b32 v64, v21 offset:6528                           // 00000000834C: D86C1980 40000015
	ds_read_b32 v65, v21 offset:6592                           // 000000008354: D86C19C0 41000015
	ds_read_b32 v68, v21 offset:8704                           // 00000000835C: D86C2200 44000015
	ds_read_b32 v69, v21 offset:8768                           // 000000008364: D86C2240 45000015
	ds_read_b32 v72, v21 offset:10880                          // 00000000836C: D86C2A80 48000015
	ds_read_b32 v73, v21 offset:10944                          // 000000008374: D86C2AC0 49000015
	ds_read_b32 v76, v21 offset:13056                          // 00000000837C: D86C3300 4C000015
	ds_read_b32 v77, v21 offset:13120                          // 000000008384: D86C3340 4D000015
	ds_read_b32 v80, v21 offset:15232                          // 00000000838C: D86C3B80 50000015
	ds_read_b32 v81, v21 offset:15296                          // 000000008394: D86C3BC0 51000015
	ds_read_b32 v84, v21 offset:17408                          // 00000000839C: D86C4400 54000015
	ds_read_b32 v85, v21 offset:17472                          // 0000000083A4: D86C4440 55000015
	ds_read_b32 v88, v21 offset:19584                          // 0000000083AC: D86C4C80 58000015
	ds_read_b32 v89, v21 offset:19648                          // 0000000083B4: D86C4CC0 59000015
	ds_read_b32 v92, v21 offset:21760                          // 0000000083BC: D86C5500 5C000015
	ds_read_b32 v93, v21 offset:21824                          // 0000000083C4: D86C5540 5D000015
	ds_read_b32 v96, v21 offset:23936                          // 0000000083CC: D86C5D80 60000015
	ds_read_b32 v97, v21 offset:24000                          // 0000000083D4: D86C5DC0 61000015
	s_waitcnt lgkmcnt(0)                                       // 0000000083DC: BF8CC07F
	s_mov_b32 s36, -1                                          // 0000000083E0: BEA400C1
	s_mov_b32 s37, -1                                          // 0000000083E4: BEA500C1
	v_mov_b32_e32 v7, 0                                        // 0000000083E8: 7E0E0280
	s_mov_b64 exec, s[36:37]                                   // 0000000083EC: BEFE0124
	v_mov_b32_e32 v6, v42                                      // 0000000083F0: 7E0C032A
	s_mov_b64 s[60:61], 0                                      // 0000000083F4: BEBC0180
	v_readlane_b32 s82, v3, 0                                  // 0000000083F8: D2890052 00010103
	s_and_b32 s82, s82, 0xffffff                               // 000000008400: 8652FF52 00FFFFFF
	s_cmp_lt_u32 s82, s66                                      // 000000008408: BF0A4252
	s_cselect_b32 s20, s36, s60                                // 00000000840C: 85143C24
	v_readlane_b32 s82, v3, 1                                  // 000000008410: D2890052 00010303
	s_and_b32 s82, s82, 0xffffff                               // 000000008418: 8652FF52 00FFFFFF
	s_cmp_lt_u32 s82, s66                                      // 000000008420: BF0A4252
	s_cselect_b32 s21, s36, s60                                // 000000008424: 85153C24
	s_mov_b64 exec, s[20:21]                                   // 000000008428: BEFE0114
	global_atomic_add_f32 v6, v52, s[8:9]                      // 00000000842C: DD348000 00083406
	global_atomic_add_f32 v6, v56, s[8:9] offset:256           // 000000008434: DD348100 00083806
	global_atomic_add_f32 v6, v60, s[8:9] offset:512           // 00000000843C: DD348200 00083C06
	global_atomic_add_f32 v6, v64, s[8:9] offset:768           // 000000008444: DD348300 00084006
	s_mov_b64 exec, s[36:37]                                   // 00000000844C: BEFE0124
	v_mov_b32_e32 v6, v43                                      // 000000008450: 7E0C032B
	s_mov_b64 s[60:61], 0                                      // 000000008454: BEBC0180
	v_readlane_b32 s82, v3, 2                                  // 000000008458: D2890052 00010503
	s_and_b32 s82, s82, 0xffffff                               // 000000008460: 8652FF52 00FFFFFF
	s_cmp_lt_u32 s82, s66                                      // 000000008468: BF0A4252
	s_cselect_b32 s20, s36, s60                                // 00000000846C: 85143C24
	v_readlane_b32 s82, v3, 3                                  // 000000008470: D2890052 00010703
	s_and_b32 s82, s82, 0xffffff                               // 000000008478: 8652FF52 00FFFFFF
	s_cmp_lt_u32 s82, s66                                      // 000000008480: BF0A4252
	s_cselect_b32 s21, s36, s60                                // 000000008484: 85153C24
	s_mov_b64 exec, s[20:21]                                   // 000000008488: BEFE0114
	global_atomic_add_f32 v6, v53, s[8:9]                      // 00000000848C: DD348000 00083506
	global_atomic_add_f32 v6, v57, s[8:9] offset:256           // 000000008494: DD348100 00083906
	global_atomic_add_f32 v6, v61, s[8:9] offset:512           // 00000000849C: DD348200 00083D06
	global_atomic_add_f32 v6, v65, s[8:9] offset:768           // 0000000084A4: DD348300 00084106
	s_mov_b64 exec, s[36:37]                                   // 0000000084AC: BEFE0124
	v_mov_b32_e32 v6, v44                                      // 0000000084B0: 7E0C032C
	s_mov_b64 s[60:61], 0                                      // 0000000084B4: BEBC0180
	v_readlane_b32 s82, v3, 4                                  // 0000000084B8: D2890052 00010903
	s_and_b32 s82, s82, 0xffffff                               // 0000000084C0: 8652FF52 00FFFFFF
	s_cmp_lt_u32 s82, s66                                      // 0000000084C8: BF0A4252
	s_cselect_b32 s20, s36, s60                                // 0000000084CC: 85143C24
	v_readlane_b32 s82, v3, 5                                  // 0000000084D0: D2890052 00010B03
	s_and_b32 s82, s82, 0xffffff                               // 0000000084D8: 8652FF52 00FFFFFF
	s_cmp_lt_u32 s82, s66                                      // 0000000084E0: BF0A4252
	s_cselect_b32 s21, s36, s60                                // 0000000084E4: 85153C24
	s_mov_b64 exec, s[20:21]                                   // 0000000084E8: BEFE0114
	global_atomic_add_f32 v6, v68, s[8:9]                      // 0000000084EC: DD348000 00084406
	global_atomic_add_f32 v6, v72, s[8:9] offset:256           // 0000000084F4: DD348100 00084806
	global_atomic_add_f32 v6, v76, s[8:9] offset:512           // 0000000084FC: DD348200 00084C06
	global_atomic_add_f32 v6, v80, s[8:9] offset:768           // 000000008504: DD348300 00085006
	s_mov_b64 exec, s[36:37]                                   // 00000000850C: BEFE0124
	v_mov_b32_e32 v6, v45                                      // 000000008510: 7E0C032D
	s_mov_b64 s[60:61], 0                                      // 000000008514: BEBC0180
	v_readlane_b32 s82, v3, 6                                  // 000000008518: D2890052 00010D03
	s_and_b32 s82, s82, 0xffffff                               // 000000008520: 8652FF52 00FFFFFF
	s_cmp_lt_u32 s82, s66                                      // 000000008528: BF0A4252
	s_cselect_b32 s20, s36, s60                                // 00000000852C: 85143C24
	v_readlane_b32 s82, v3, 7                                  // 000000008530: D2890052 00010F03
	s_and_b32 s82, s82, 0xffffff                               // 000000008538: 8652FF52 00FFFFFF
	s_cmp_lt_u32 s82, s66                                      // 000000008540: BF0A4252
	s_cselect_b32 s21, s36, s60                                // 000000008544: 85153C24
	s_mov_b64 exec, s[20:21]                                   // 000000008548: BEFE0114
	global_atomic_add_f32 v6, v69, s[8:9]                      // 00000000854C: DD348000 00084506
	global_atomic_add_f32 v6, v73, s[8:9] offset:256           // 000000008554: DD348100 00084906
	global_atomic_add_f32 v6, v77, s[8:9] offset:512           // 00000000855C: DD348200 00084D06
	global_atomic_add_f32 v6, v81, s[8:9] offset:768           // 000000008564: DD348300 00085106
	s_mov_b64 exec, s[36:37]                                   // 00000000856C: BEFE0124
	v_mov_b32_e32 v6, v46                                      // 000000008570: 7E0C032E
	s_mov_b64 s[60:61], 0                                      // 000000008574: BEBC0180
	v_readlane_b32 s82, v3, 8                                  // 000000008578: D2890052 00011103
	s_and_b32 s82, s82, 0xffffff                               // 000000008580: 8652FF52 00FFFFFF
	s_cmp_lt_u32 s82, s66                                      // 000000008588: BF0A4252
	s_cselect_b32 s20, s36, s60                                // 00000000858C: 85143C24
	v_readlane_b32 s82, v3, 9                                  // 000000008590: D2890052 00011303
	s_and_b32 s82, s82, 0xffffff                               // 000000008598: 8652FF52 00FFFFFF
	s_cmp_lt_u32 s82, s66                                      // 0000000085A0: BF0A4252
	s_cselect_b32 s21, s36, s60                                // 0000000085A4: 85153C24
	s_mov_b64 exec, s[20:21]                                   // 0000000085A8: BEFE0114
	global_atomic_add_f32 v6, v84, s[8:9]                      // 0000000085AC: DD348000 00085406
	global_atomic_add_f32 v6, v88, s[8:9] offset:256           // 0000000085B4: DD348100 00085806
	global_atomic_add_f32 v6, v92, s[8:9] offset:512           // 0000000085BC: DD348200 00085C06
	global_atomic_add_f32 v6, v96, s[8:9] offset:768           // 0000000085C4: DD348300 00086006
	s_mov_b64 exec, s[36:37]                                   // 0000000085CC: BEFE0124
	v_mov_b32_e32 v6, v47                                      // 0000000085D0: 7E0C032F
	s_mov_b64 s[60:61], 0                                      // 0000000085D4: BEBC0180
	v_readlane_b32 s82, v3, 10                                 // 0000000085D8: D2890052 00011503
	s_and_b32 s82, s82, 0xffffff                               // 0000000085E0: 8652FF52 00FFFFFF
	s_cmp_lt_u32 s82, s66                                      // 0000000085E8: BF0A4252
	s_cselect_b32 s20, s36, s60                                // 0000000085EC: 85143C24
	v_readlane_b32 s82, v3, 11                                 // 0000000085F0: D2890052 00011703
	s_and_b32 s82, s82, 0xffffff                               // 0000000085F8: 8652FF52 00FFFFFF
	s_cmp_lt_u32 s82, s66                                      // 000000008600: BF0A4252
	s_cselect_b32 s21, s36, s60                                // 000000008604: 85153C24
	s_mov_b64 exec, s[20:21]                                   // 000000008608: BEFE0114
	global_atomic_add_f32 v6, v85, s[8:9]                      // 00000000860C: DD348000 00085506
	global_atomic_add_f32 v6, v89, s[8:9] offset:256           // 000000008614: DD348100 00085906
	global_atomic_add_f32 v6, v93, s[8:9] offset:512           // 00000000861C: DD348200 00085D06
	global_atomic_add_f32 v6, v97, s[8:9] offset:768           // 000000008624: DD348300 00086106
	s_mov_b64 exec, s[36:37]                                   // 00000000862C: BEFE0124
	ds_write_b64 v20, v[54:55]                                 // 000000008630: D89A0000 00003614
	ds_write_b64 v20, v[58:59] offset:8704                     // 000000008638: D89A2200 00003A14
	ds_write_b64 v20, v[62:63] offset:17408                    // 000000008640: D89A4400 00003E14
	ds_write_b64 v20, v[66:67] offset:2176                     // 000000008648: D89A0880 00004214
	ds_write_b64 v20, v[70:71] offset:10880                    // 000000008650: D89A2A80 00004614
	ds_write_b64 v20, v[74:75] offset:19584                    // 000000008658: D89A4C80 00004A14
	ds_write_b64 v20, v[78:79] offset:4352                     // 000000008660: D89A1100 00004E14
	ds_write_b64 v20, v[82:83] offset:13056                    // 000000008668: D89A3300 00005214
	ds_write_b64 v20, v[86:87] offset:21760                    // 000000008670: D89A5500 00005614
	ds_write_b64 v20, v[90:91] offset:6528                     // 000000008678: D89A1980 00005A14
	ds_write_b64 v20, v[94:95] offset:15232                    // 000000008680: D89A3B80 00005E14
	ds_write_b64 v20, v[98:99] offset:23936                    // 000000008688: D89A5D80 00006214
	s_waitcnt lgkmcnt(0)                                       // 000000008690: BF8CC07F
	s_barrier                                                  // 000000008694: BF8A0000
	ds_read_b32 v54, v21                                       // 000000008698: D86C0000 36000015
	ds_read_b32 v55, v21 offset:64                             // 0000000086A0: D86C0040 37000015
	ds_read_b32 v58, v21 offset:2176                           // 0000000086A8: D86C0880 3A000015
	ds_read_b32 v59, v21 offset:2240                           // 0000000086B0: D86C08C0 3B000015
	ds_read_b32 v62, v21 offset:4352                           // 0000000086B8: D86C1100 3E000015
	ds_read_b32 v63, v21 offset:4416                           // 0000000086C0: D86C1140 3F000015
	ds_read_b32 v66, v21 offset:6528                           // 0000000086C8: D86C1980 42000015
	ds_read_b32 v67, v21 offset:6592                           // 0000000086D0: D86C19C0 43000015
	ds_read_b32 v70, v21 offset:8704                           // 0000000086D8: D86C2200 46000015
	ds_read_b32 v71, v21 offset:8768                           // 0000000086E0: D86C2240 47000015
	ds_read_b32 v74, v21 offset:10880                          // 0000000086E8: D86C2A80 4A000015
	ds_read_b32 v75, v21 offset:10944                          // 0000000086F0: D86C2AC0 4B000015
	ds_read_b32 v78, v21 offset:13056                          // 0000000086F8: D86C3300 4E000015
	ds_read_b32 v79, v21 offset:13120                          // 000000008700: D86C3340 4F000015
	ds_read_b32 v82, v21 offset:15232                          // 000000008708: D86C3B80 52000015
	ds_read_b32 v83, v21 offset:15296                          // 000000008710: D86C3BC0 53000015
	ds_read_b32 v86, v21 offset:17408                          // 000000008718: D86C4400 56000015
	ds_read_b32 v87, v21 offset:17472                          // 000000008720: D86C4440 57000015
	ds_read_b32 v90, v21 offset:19584                          // 000000008728: D86C4C80 5A000015
	ds_read_b32 v91, v21 offset:19648                          // 000000008730: D86C4CC0 5B000015
	ds_read_b32 v94, v21 offset:21760                          // 000000008738: D86C5500 5E000015
	ds_read_b32 v95, v21 offset:21824                          // 000000008740: D86C5540 5F000015
	ds_read_b32 v98, v21 offset:23936                          // 000000008748: D86C5D80 62000015
	ds_read_b32 v99, v21 offset:24000                          // 000000008750: D86C5DC0 63000015
	s_waitcnt lgkmcnt(0)                                       // 000000008758: BF8CC07F
	v_mov_b32_e32 v7, 0                                        // 00000000875C: 7E0E0280
	s_mov_b64 exec, s[36:37]                                   // 000000008760: BEFE0124
	v_mov_b32_e32 v6, v42                                      // 000000008764: 7E0C032A
	s_mov_b64 s[60:61], 0                                      // 000000008768: BEBC0180
	v_readlane_b32 s82, v3, 0                                  // 00000000876C: D2890052 00010103
	s_and_b32 s82, s82, 0xffffff                               // 000000008774: 8652FF52 00FFFFFF
	s_cmp_lt_u32 s82, s66                                      // 00000000877C: BF0A4252
	s_cselect_b32 s20, s36, s60                                // 000000008780: 85143C24
	v_readlane_b32 s82, v3, 1                                  // 000000008784: D2890052 00010303
	s_and_b32 s82, s82, 0xffffff                               // 00000000878C: 8652FF52 00FFFFFF
	s_cmp_lt_u32 s82, s66                                      // 000000008794: BF0A4252
	s_cselect_b32 s21, s36, s60                                // 000000008798: 85153C24
	s_mov_b64 exec, s[20:21]                                   // 00000000879C: BEFE0114
	global_atomic_add_f32 v6, v54, s[8:9] offset:8             // 0000000087A0: DD348008 00083606
	global_atomic_add_f32 v6, v58, s[8:9] offset:264           // 0000000087A8: DD348108 00083A06
	global_atomic_add_f32 v6, v62, s[8:9] offset:520           // 0000000087B0: DD348208 00083E06
	global_atomic_add_f32 v6, v66, s[8:9] offset:776           // 0000000087B8: DD348308 00084206
	s_mov_b64 exec, s[36:37]                                   // 0000000087C0: BEFE0124
	v_mov_b32_e32 v6, v43                                      // 0000000087C4: 7E0C032B
	s_mov_b64 s[60:61], 0                                      // 0000000087C8: BEBC0180
	v_readlane_b32 s82, v3, 2                                  // 0000000087CC: D2890052 00010503
	s_and_b32 s82, s82, 0xffffff                               // 0000000087D4: 8652FF52 00FFFFFF
	s_cmp_lt_u32 s82, s66                                      // 0000000087DC: BF0A4252
	s_cselect_b32 s20, s36, s60                                // 0000000087E0: 85143C24
	v_readlane_b32 s82, v3, 3                                  // 0000000087E4: D2890052 00010703
	s_and_b32 s82, s82, 0xffffff                               // 0000000087EC: 8652FF52 00FFFFFF
	s_cmp_lt_u32 s82, s66                                      // 0000000087F4: BF0A4252
	s_cselect_b32 s21, s36, s60                                // 0000000087F8: 85153C24
	s_mov_b64 exec, s[20:21]                                   // 0000000087FC: BEFE0114
	global_atomic_add_f32 v6, v55, s[8:9] offset:8             // 000000008800: DD348008 00083706
	global_atomic_add_f32 v6, v59, s[8:9] offset:264           // 000000008808: DD348108 00083B06
	global_atomic_add_f32 v6, v63, s[8:9] offset:520           // 000000008810: DD348208 00083F06
	global_atomic_add_f32 v6, v67, s[8:9] offset:776           // 000000008818: DD348308 00084306
	s_mov_b64 exec, s[36:37]                                   // 000000008820: BEFE0124
	v_mov_b32_e32 v6, v44                                      // 000000008824: 7E0C032C
	s_mov_b64 s[60:61], 0                                      // 000000008828: BEBC0180
	v_readlane_b32 s82, v3, 4                                  // 00000000882C: D2890052 00010903
	s_and_b32 s82, s82, 0xffffff                               // 000000008834: 8652FF52 00FFFFFF
	s_cmp_lt_u32 s82, s66                                      // 00000000883C: BF0A4252
	s_cselect_b32 s20, s36, s60                                // 000000008840: 85143C24
	v_readlane_b32 s82, v3, 5                                  // 000000008844: D2890052 00010B03
	s_and_b32 s82, s82, 0xffffff                               // 00000000884C: 8652FF52 00FFFFFF
	s_cmp_lt_u32 s82, s66                                      // 000000008854: BF0A4252
	s_cselect_b32 s21, s36, s60                                // 000000008858: 85153C24
	s_mov_b64 exec, s[20:21]                                   // 00000000885C: BEFE0114
	global_atomic_add_f32 v6, v70, s[8:9] offset:8             // 000000008860: DD348008 00084606
	global_atomic_add_f32 v6, v74, s[8:9] offset:264           // 000000008868: DD348108 00084A06
	global_atomic_add_f32 v6, v78, s[8:9] offset:520           // 000000008870: DD348208 00084E06
	global_atomic_add_f32 v6, v82, s[8:9] offset:776           // 000000008878: DD348308 00085206
	s_mov_b64 exec, s[36:37]                                   // 000000008880: BEFE0124
	v_mov_b32_e32 v6, v45                                      // 000000008884: 7E0C032D
	s_mov_b64 s[60:61], 0                                      // 000000008888: BEBC0180
	v_readlane_b32 s82, v3, 6                                  // 00000000888C: D2890052 00010D03
	s_and_b32 s82, s82, 0xffffff                               // 000000008894: 8652FF52 00FFFFFF
	s_cmp_lt_u32 s82, s66                                      // 00000000889C: BF0A4252
	s_cselect_b32 s20, s36, s60                                // 0000000088A0: 85143C24
	v_readlane_b32 s82, v3, 7                                  // 0000000088A4: D2890052 00010F03
	s_and_b32 s82, s82, 0xffffff                               // 0000000088AC: 8652FF52 00FFFFFF
	s_cmp_lt_u32 s82, s66                                      // 0000000088B4: BF0A4252
	s_cselect_b32 s21, s36, s60                                // 0000000088B8: 85153C24
	s_mov_b64 exec, s[20:21]                                   // 0000000088BC: BEFE0114
	global_atomic_add_f32 v6, v71, s[8:9] offset:8             // 0000000088C0: DD348008 00084706
	global_atomic_add_f32 v6, v75, s[8:9] offset:264           // 0000000088C8: DD348108 00084B06
	global_atomic_add_f32 v6, v79, s[8:9] offset:520           // 0000000088D0: DD348208 00084F06
	global_atomic_add_f32 v6, v83, s[8:9] offset:776           // 0000000088D8: DD348308 00085306
	s_mov_b64 exec, s[36:37]                                   // 0000000088E0: BEFE0124
	v_mov_b32_e32 v6, v46                                      // 0000000088E4: 7E0C032E
	s_mov_b64 s[60:61], 0                                      // 0000000088E8: BEBC0180
	v_readlane_b32 s82, v3, 8                                  // 0000000088EC: D2890052 00011103
	s_and_b32 s82, s82, 0xffffff                               // 0000000088F4: 8652FF52 00FFFFFF
	s_cmp_lt_u32 s82, s66                                      // 0000000088FC: BF0A4252
	s_cselect_b32 s20, s36, s60                                // 000000008900: 85143C24
	v_readlane_b32 s82, v3, 9                                  // 000000008904: D2890052 00011303
	s_and_b32 s82, s82, 0xffffff                               // 00000000890C: 8652FF52 00FFFFFF
	s_cmp_lt_u32 s82, s66                                      // 000000008914: BF0A4252
	s_cselect_b32 s21, s36, s60                                // 000000008918: 85153C24
	s_mov_b64 exec, s[20:21]                                   // 00000000891C: BEFE0114
	global_atomic_add_f32 v6, v86, s[8:9] offset:8             // 000000008920: DD348008 00085606
	global_atomic_add_f32 v6, v90, s[8:9] offset:264           // 000000008928: DD348108 00085A06
	global_atomic_add_f32 v6, v94, s[8:9] offset:520           // 000000008930: DD348208 00085E06
	global_atomic_add_f32 v6, v98, s[8:9] offset:776           // 000000008938: DD348308 00086206
	s_mov_b64 exec, s[36:37]                                   // 000000008940: BEFE0124
	v_mov_b32_e32 v6, v47                                      // 000000008944: 7E0C032F
	s_mov_b64 s[60:61], 0                                      // 000000008948: BEBC0180
	v_readlane_b32 s82, v3, 10                                 // 00000000894C: D2890052 00011503
	s_and_b32 s82, s82, 0xffffff                               // 000000008954: 8652FF52 00FFFFFF
	s_cmp_lt_u32 s82, s66                                      // 00000000895C: BF0A4252
	s_cselect_b32 s20, s36, s60                                // 000000008960: 85143C24
	v_readlane_b32 s82, v3, 11                                 // 000000008964: D2890052 00011703
	s_and_b32 s82, s82, 0xffffff                               // 00000000896C: 8652FF52 00FFFFFF
	s_cmp_lt_u32 s82, s66                                      // 000000008974: BF0A4252
	s_cselect_b32 s21, s36, s60                                // 000000008978: 85153C24
	s_mov_b64 exec, s[20:21]                                   // 00000000897C: BEFE0114
	global_atomic_add_f32 v6, v87, s[8:9] offset:8             // 000000008980: DD348008 00085706
	global_atomic_add_f32 v6, v91, s[8:9] offset:264           // 000000008988: DD348108 00085B06
	global_atomic_add_f32 v6, v95, s[8:9] offset:520           // 000000008990: DD348208 00085F06
	global_atomic_add_f32 v6, v99, s[8:9] offset:776           // 000000008998: DD348308 00086306
	s_mov_b64 exec, s[36:37]                                   // 0000000089A0: BEFE0124
	ds_write_b64 v20, v[100:101]                               // 0000000089A4: D89A0000 00006414
	ds_write_b64 v20, v[104:105] offset:8704                   // 0000000089AC: D89A2200 00006814
	ds_write_b64 v20, v[108:109] offset:17408                  // 0000000089B4: D89A4400 00006C14
	ds_write_b64 v20, v[112:113] offset:2176                   // 0000000089BC: D89A0880 00007014
	ds_write_b64 v20, v[116:117] offset:10880                  // 0000000089C4: D89A2A80 00007414
	ds_write_b64 v20, v[120:121] offset:19584                  // 0000000089CC: D89A4C80 00007814
	ds_write_b64 v20, v[124:125] offset:4352                   // 0000000089D4: D89A1100 00007C14
	ds_write_b64 v20, v[128:129] offset:13056                  // 0000000089DC: D89A3300 00008014
	ds_write_b64 v20, v[132:133] offset:21760                  // 0000000089E4: D89A5500 00008414
	ds_write_b64 v20, v[136:137] offset:6528                   // 0000000089EC: D89A1980 00008814
	ds_write_b64 v20, v[140:141] offset:15232                  // 0000000089F4: D89A3B80 00008C14
	ds_write_b64 v20, v[144:145] offset:23936                  // 0000000089FC: D89A5D80 00009014
	s_waitcnt lgkmcnt(0)                                       // 000000008A04: BF8CC07F
	s_barrier                                                  // 000000008A08: BF8A0000
	ds_read_b32 v100, v21                                      // 000000008A0C: D86C0000 64000015
	ds_read_b32 v101, v21 offset:64                            // 000000008A14: D86C0040 65000015
	ds_read_b32 v104, v21 offset:2176                          // 000000008A1C: D86C0880 68000015
	ds_read_b32 v105, v21 offset:2240                          // 000000008A24: D86C08C0 69000015
	ds_read_b32 v108, v21 offset:4352                          // 000000008A2C: D86C1100 6C000015
	ds_read_b32 v109, v21 offset:4416                          // 000000008A34: D86C1140 6D000015
	ds_read_b32 v112, v21 offset:6528                          // 000000008A3C: D86C1980 70000015
	ds_read_b32 v113, v21 offset:6592                          // 000000008A44: D86C19C0 71000015
	ds_read_b32 v116, v21 offset:8704                          // 000000008A4C: D86C2200 74000015
	ds_read_b32 v117, v21 offset:8768                          // 000000008A54: D86C2240 75000015
	ds_read_b32 v120, v21 offset:10880                         // 000000008A5C: D86C2A80 78000015
	ds_read_b32 v121, v21 offset:10944                         // 000000008A64: D86C2AC0 79000015
	ds_read_b32 v124, v21 offset:13056                         // 000000008A6C: D86C3300 7C000015
	ds_read_b32 v125, v21 offset:13120                         // 000000008A74: D86C3340 7D000015
	ds_read_b32 v128, v21 offset:15232                         // 000000008A7C: D86C3B80 80000015
	ds_read_b32 v129, v21 offset:15296                         // 000000008A84: D86C3BC0 81000015
	ds_read_b32 v132, v21 offset:17408                         // 000000008A8C: D86C4400 84000015
	ds_read_b32 v133, v21 offset:17472                         // 000000008A94: D86C4440 85000015
	ds_read_b32 v136, v21 offset:19584                         // 000000008A9C: D86C4C80 88000015
	ds_read_b32 v137, v21 offset:19648                         // 000000008AA4: D86C4CC0 89000015
	ds_read_b32 v140, v21 offset:21760                         // 000000008AAC: D86C5500 8C000015
	ds_read_b32 v141, v21 offset:21824                         // 000000008AB4: D86C5540 8D000015
	ds_read_b32 v144, v21 offset:23936                         // 000000008ABC: D86C5D80 90000015
	ds_read_b32 v145, v21 offset:24000                         // 000000008AC4: D86C5DC0 91000015
	s_mul_i32 s60, s65, 4                                      // 000000008ACC: 923C8441
	s_add_u32 s8, s60, s8                                      // 000000008AD0: 8008083C
	s_addc_u32 s9, 0, s9                                       // 000000008AD4: 82090980
	s_waitcnt lgkmcnt(0)                                       // 000000008AD8: BF8CC07F
	v_mov_b32_e32 v7, 0                                        // 000000008ADC: 7E0E0280
	s_mov_b64 exec, s[36:37]                                   // 000000008AE0: BEFE0124
	v_mov_b32_e32 v6, v42                                      // 000000008AE4: 7E0C032A
	s_mov_b64 s[60:61], 0                                      // 000000008AE8: BEBC0180
	v_readlane_b32 s82, v3, 0                                  // 000000008AEC: D2890052 00010103
	s_and_b32 s82, s82, 0xffffff                               // 000000008AF4: 8652FF52 00FFFFFF
	s_cmp_lt_u32 s82, s66                                      // 000000008AFC: BF0A4252
	s_cselect_b32 s20, s36, s60                                // 000000008B00: 85143C24
	v_readlane_b32 s82, v3, 1                                  // 000000008B04: D2890052 00010303
	s_and_b32 s82, s82, 0xffffff                               // 000000008B0C: 8652FF52 00FFFFFF
	s_cmp_lt_u32 s82, s66                                      // 000000008B14: BF0A4252
	s_cselect_b32 s21, s36, s60                                // 000000008B18: 85153C24
	s_mov_b64 exec, s[20:21]                                   // 000000008B1C: BEFE0114
	global_atomic_add_f32 v6, v100, s[8:9]                     // 000000008B20: DD348000 00086406
	global_atomic_add_f32 v6, v104, s[8:9] offset:256          // 000000008B28: DD348100 00086806
	global_atomic_add_f32 v6, v108, s[8:9] offset:512          // 000000008B30: DD348200 00086C06
	global_atomic_add_f32 v6, v112, s[8:9] offset:768          // 000000008B38: DD348300 00087006
	s_mov_b64 exec, s[36:37]                                   // 000000008B40: BEFE0124
	v_mov_b32_e32 v6, v43                                      // 000000008B44: 7E0C032B
	s_mov_b64 s[60:61], 0                                      // 000000008B48: BEBC0180
	v_readlane_b32 s82, v3, 2                                  // 000000008B4C: D2890052 00010503
	s_and_b32 s82, s82, 0xffffff                               // 000000008B54: 8652FF52 00FFFFFF
	s_cmp_lt_u32 s82, s66                                      // 000000008B5C: BF0A4252
	s_cselect_b32 s20, s36, s60                                // 000000008B60: 85143C24
	v_readlane_b32 s82, v3, 3                                  // 000000008B64: D2890052 00010703
	s_and_b32 s82, s82, 0xffffff                               // 000000008B6C: 8652FF52 00FFFFFF
	s_cmp_lt_u32 s82, s66                                      // 000000008B74: BF0A4252
	s_cselect_b32 s21, s36, s60                                // 000000008B78: 85153C24
	s_mov_b64 exec, s[20:21]                                   // 000000008B7C: BEFE0114
	global_atomic_add_f32 v6, v101, s[8:9]                     // 000000008B80: DD348000 00086506
	global_atomic_add_f32 v6, v105, s[8:9] offset:256          // 000000008B88: DD348100 00086906
	global_atomic_add_f32 v6, v109, s[8:9] offset:512          // 000000008B90: DD348200 00086D06
	global_atomic_add_f32 v6, v113, s[8:9] offset:768          // 000000008B98: DD348300 00087106
	s_mov_b64 exec, s[36:37]                                   // 000000008BA0: BEFE0124
	v_mov_b32_e32 v6, v44                                      // 000000008BA4: 7E0C032C
	s_mov_b64 s[60:61], 0                                      // 000000008BA8: BEBC0180
	v_readlane_b32 s82, v3, 4                                  // 000000008BAC: D2890052 00010903
	s_and_b32 s82, s82, 0xffffff                               // 000000008BB4: 8652FF52 00FFFFFF
	s_cmp_lt_u32 s82, s66                                      // 000000008BBC: BF0A4252
	s_cselect_b32 s20, s36, s60                                // 000000008BC0: 85143C24
	v_readlane_b32 s82, v3, 5                                  // 000000008BC4: D2890052 00010B03
	s_and_b32 s82, s82, 0xffffff                               // 000000008BCC: 8652FF52 00FFFFFF
	s_cmp_lt_u32 s82, s66                                      // 000000008BD4: BF0A4252
	s_cselect_b32 s21, s36, s60                                // 000000008BD8: 85153C24
	s_mov_b64 exec, s[20:21]                                   // 000000008BDC: BEFE0114
	global_atomic_add_f32 v6, v116, s[8:9]                     // 000000008BE0: DD348000 00087406
	global_atomic_add_f32 v6, v120, s[8:9] offset:256          // 000000008BE8: DD348100 00087806
	global_atomic_add_f32 v6, v124, s[8:9] offset:512          // 000000008BF0: DD348200 00087C06
	global_atomic_add_f32 v6, v128, s[8:9] offset:768          // 000000008BF8: DD348300 00088006
	s_mov_b64 exec, s[36:37]                                   // 000000008C00: BEFE0124
	v_mov_b32_e32 v6, v45                                      // 000000008C04: 7E0C032D
	s_mov_b64 s[60:61], 0                                      // 000000008C08: BEBC0180
	v_readlane_b32 s82, v3, 6                                  // 000000008C0C: D2890052 00010D03
	s_and_b32 s82, s82, 0xffffff                               // 000000008C14: 8652FF52 00FFFFFF
	s_cmp_lt_u32 s82, s66                                      // 000000008C1C: BF0A4252
	s_cselect_b32 s20, s36, s60                                // 000000008C20: 85143C24
	v_readlane_b32 s82, v3, 7                                  // 000000008C24: D2890052 00010F03
	s_and_b32 s82, s82, 0xffffff                               // 000000008C2C: 8652FF52 00FFFFFF
	s_cmp_lt_u32 s82, s66                                      // 000000008C34: BF0A4252
	s_cselect_b32 s21, s36, s60                                // 000000008C38: 85153C24
	s_mov_b64 exec, s[20:21]                                   // 000000008C3C: BEFE0114
	global_atomic_add_f32 v6, v117, s[8:9]                     // 000000008C40: DD348000 00087506
	global_atomic_add_f32 v6, v121, s[8:9] offset:256          // 000000008C48: DD348100 00087906
	global_atomic_add_f32 v6, v125, s[8:9] offset:512          // 000000008C50: DD348200 00087D06
	global_atomic_add_f32 v6, v129, s[8:9] offset:768          // 000000008C58: DD348300 00088106
	s_mov_b64 exec, s[36:37]                                   // 000000008C60: BEFE0124
	v_mov_b32_e32 v6, v46                                      // 000000008C64: 7E0C032E
	s_mov_b64 s[60:61], 0                                      // 000000008C68: BEBC0180
	v_readlane_b32 s82, v3, 8                                  // 000000008C6C: D2890052 00011103
	s_and_b32 s82, s82, 0xffffff                               // 000000008C74: 8652FF52 00FFFFFF
	s_cmp_lt_u32 s82, s66                                      // 000000008C7C: BF0A4252
	s_cselect_b32 s20, s36, s60                                // 000000008C80: 85143C24
	v_readlane_b32 s82, v3, 9                                  // 000000008C84: D2890052 00011303
	s_and_b32 s82, s82, 0xffffff                               // 000000008C8C: 8652FF52 00FFFFFF
	s_cmp_lt_u32 s82, s66                                      // 000000008C94: BF0A4252
	s_cselect_b32 s21, s36, s60                                // 000000008C98: 85153C24
	s_mov_b64 exec, s[20:21]                                   // 000000008C9C: BEFE0114
	global_atomic_add_f32 v6, v132, s[8:9]                     // 000000008CA0: DD348000 00088406
	global_atomic_add_f32 v6, v136, s[8:9] offset:256          // 000000008CA8: DD348100 00088806
	global_atomic_add_f32 v6, v140, s[8:9] offset:512          // 000000008CB0: DD348200 00088C06
	global_atomic_add_f32 v6, v144, s[8:9] offset:768          // 000000008CB8: DD348300 00089006
	s_mov_b64 exec, s[36:37]                                   // 000000008CC0: BEFE0124
	v_mov_b32_e32 v6, v47                                      // 000000008CC4: 7E0C032F
	s_mov_b64 s[60:61], 0                                      // 000000008CC8: BEBC0180
	v_readlane_b32 s82, v3, 10                                 // 000000008CCC: D2890052 00011503
	s_and_b32 s82, s82, 0xffffff                               // 000000008CD4: 8652FF52 00FFFFFF
	s_cmp_lt_u32 s82, s66                                      // 000000008CDC: BF0A4252
	s_cselect_b32 s20, s36, s60                                // 000000008CE0: 85143C24
	v_readlane_b32 s82, v3, 11                                 // 000000008CE4: D2890052 00011703
	s_and_b32 s82, s82, 0xffffff                               // 000000008CEC: 8652FF52 00FFFFFF
	s_cmp_lt_u32 s82, s66                                      // 000000008CF4: BF0A4252
	s_cselect_b32 s21, s36, s60                                // 000000008CF8: 85153C24
	s_mov_b64 exec, s[20:21]                                   // 000000008CFC: BEFE0114
	global_atomic_add_f32 v6, v133, s[8:9]                     // 000000008D00: DD348000 00088506
	global_atomic_add_f32 v6, v137, s[8:9] offset:256          // 000000008D08: DD348100 00088906
	global_atomic_add_f32 v6, v141, s[8:9] offset:512          // 000000008D10: DD348200 00088D06
	global_atomic_add_f32 v6, v145, s[8:9] offset:768          // 000000008D18: DD348300 00089106
	s_mov_b64 exec, s[36:37]                                   // 000000008D20: BEFE0124
	ds_write_b64 v20, v[102:103]                               // 000000008D24: D89A0000 00006614
	ds_write_b64 v20, v[106:107] offset:8704                   // 000000008D2C: D89A2200 00006A14
	ds_write_b64 v20, v[110:111] offset:17408                  // 000000008D34: D89A4400 00006E14
	ds_write_b64 v20, v[114:115] offset:2176                   // 000000008D3C: D89A0880 00007214
	ds_write_b64 v20, v[118:119] offset:10880                  // 000000008D44: D89A2A80 00007614
	ds_write_b64 v20, v[122:123] offset:19584                  // 000000008D4C: D89A4C80 00007A14
	ds_write_b64 v20, v[126:127] offset:4352                   // 000000008D54: D89A1100 00007E14
	ds_write_b64 v20, v[130:131] offset:13056                  // 000000008D5C: D89A3300 00008214
	ds_write_b64 v20, v[134:135] offset:21760                  // 000000008D64: D89A5500 00008614
	ds_write_b64 v20, v[138:139] offset:6528                   // 000000008D6C: D89A1980 00008A14
	ds_write_b64 v20, v[142:143] offset:15232                  // 000000008D74: D89A3B80 00008E14
	ds_write_b64 v20, v[146:147] offset:23936                  // 000000008D7C: D89A5D80 00009214
	s_waitcnt lgkmcnt(0)                                       // 000000008D84: BF8CC07F
	s_barrier                                                  // 000000008D88: BF8A0000
	ds_read_b32 v102, v21                                      // 000000008D8C: D86C0000 66000015
	ds_read_b32 v103, v21 offset:64                            // 000000008D94: D86C0040 67000015
	ds_read_b32 v106, v21 offset:2176                          // 000000008D9C: D86C0880 6A000015
	ds_read_b32 v107, v21 offset:2240                          // 000000008DA4: D86C08C0 6B000015
	ds_read_b32 v110, v21 offset:4352                          // 000000008DAC: D86C1100 6E000015
	ds_read_b32 v111, v21 offset:4416                          // 000000008DB4: D86C1140 6F000015
	ds_read_b32 v114, v21 offset:6528                          // 000000008DBC: D86C1980 72000015
	ds_read_b32 v115, v21 offset:6592                          // 000000008DC4: D86C19C0 73000015
	ds_read_b32 v118, v21 offset:8704                          // 000000008DCC: D86C2200 76000015
	ds_read_b32 v119, v21 offset:8768                          // 000000008DD4: D86C2240 77000015
	ds_read_b32 v122, v21 offset:10880                         // 000000008DDC: D86C2A80 7A000015
	ds_read_b32 v123, v21 offset:10944                         // 000000008DE4: D86C2AC0 7B000015
	ds_read_b32 v126, v21 offset:13056                         // 000000008DEC: D86C3300 7E000015
	ds_read_b32 v127, v21 offset:13120                         // 000000008DF4: D86C3340 7F000015
	ds_read_b32 v130, v21 offset:15232                         // 000000008DFC: D86C3B80 82000015
	ds_read_b32 v131, v21 offset:15296                         // 000000008E04: D86C3BC0 83000015
	ds_read_b32 v134, v21 offset:17408                         // 000000008E0C: D86C4400 86000015
	ds_read_b32 v135, v21 offset:17472                         // 000000008E14: D86C4440 87000015
	ds_read_b32 v138, v21 offset:19584                         // 000000008E1C: D86C4C80 8A000015
	ds_read_b32 v139, v21 offset:19648                         // 000000008E24: D86C4CC0 8B000015
	ds_read_b32 v142, v21 offset:21760                         // 000000008E2C: D86C5500 8E000015
	ds_read_b32 v143, v21 offset:21824                         // 000000008E34: D86C5540 8F000015
	ds_read_b32 v146, v21 offset:23936                         // 000000008E3C: D86C5D80 92000015
	ds_read_b32 v147, v21 offset:24000                         // 000000008E44: D86C5DC0 93000015
	s_waitcnt lgkmcnt(0)                                       // 000000008E4C: BF8CC07F
	v_mov_b32_e32 v7, 0                                        // 000000008E50: 7E0E0280
	s_mov_b64 exec, s[36:37]                                   // 000000008E54: BEFE0124
	v_mov_b32_e32 v6, v42                                      // 000000008E58: 7E0C032A
	s_mov_b64 s[60:61], 0                                      // 000000008E5C: BEBC0180
	v_readlane_b32 s82, v3, 0                                  // 000000008E60: D2890052 00010103
	s_and_b32 s82, s82, 0xffffff                               // 000000008E68: 8652FF52 00FFFFFF
	s_cmp_lt_u32 s82, s66                                      // 000000008E70: BF0A4252
	s_cselect_b32 s20, s36, s60                                // 000000008E74: 85143C24
	v_readlane_b32 s82, v3, 1                                  // 000000008E78: D2890052 00010303
	s_and_b32 s82, s82, 0xffffff                               // 000000008E80: 8652FF52 00FFFFFF
	s_cmp_lt_u32 s82, s66                                      // 000000008E88: BF0A4252
	s_cselect_b32 s21, s36, s60                                // 000000008E8C: 85153C24
	s_mov_b64 exec, s[20:21]                                   // 000000008E90: BEFE0114
	global_atomic_add_f32 v6, v102, s[8:9] offset:8            // 000000008E94: DD348008 00086606
	global_atomic_add_f32 v6, v106, s[8:9] offset:264          // 000000008E9C: DD348108 00086A06
	global_atomic_add_f32 v6, v110, s[8:9] offset:520          // 000000008EA4: DD348208 00086E06
	global_atomic_add_f32 v6, v114, s[8:9] offset:776          // 000000008EAC: DD348308 00087206
	s_mov_b64 exec, s[36:37]                                   // 000000008EB4: BEFE0124
	v_mov_b32_e32 v6, v43                                      // 000000008EB8: 7E0C032B
	s_mov_b64 s[60:61], 0                                      // 000000008EBC: BEBC0180
	v_readlane_b32 s82, v3, 2                                  // 000000008EC0: D2890052 00010503
	s_and_b32 s82, s82, 0xffffff                               // 000000008EC8: 8652FF52 00FFFFFF
	s_cmp_lt_u32 s82, s66                                      // 000000008ED0: BF0A4252
	s_cselect_b32 s20, s36, s60                                // 000000008ED4: 85143C24
	v_readlane_b32 s82, v3, 3                                  // 000000008ED8: D2890052 00010703
	s_and_b32 s82, s82, 0xffffff                               // 000000008EE0: 8652FF52 00FFFFFF
	s_cmp_lt_u32 s82, s66                                      // 000000008EE8: BF0A4252
	s_cselect_b32 s21, s36, s60                                // 000000008EEC: 85153C24
	s_mov_b64 exec, s[20:21]                                   // 000000008EF0: BEFE0114
	global_atomic_add_f32 v6, v103, s[8:9] offset:8            // 000000008EF4: DD348008 00086706
	global_atomic_add_f32 v6, v107, s[8:9] offset:264          // 000000008EFC: DD348108 00086B06
	global_atomic_add_f32 v6, v111, s[8:9] offset:520          // 000000008F04: DD348208 00086F06
	global_atomic_add_f32 v6, v115, s[8:9] offset:776          // 000000008F0C: DD348308 00087306
	s_mov_b64 exec, s[36:37]                                   // 000000008F14: BEFE0124
	v_mov_b32_e32 v6, v44                                      // 000000008F18: 7E0C032C
	s_mov_b64 s[60:61], 0                                      // 000000008F1C: BEBC0180
	v_readlane_b32 s82, v3, 4                                  // 000000008F20: D2890052 00010903
	s_and_b32 s82, s82, 0xffffff                               // 000000008F28: 8652FF52 00FFFFFF
	s_cmp_lt_u32 s82, s66                                      // 000000008F30: BF0A4252
	s_cselect_b32 s20, s36, s60                                // 000000008F34: 85143C24
	v_readlane_b32 s82, v3, 5                                  // 000000008F38: D2890052 00010B03
	s_and_b32 s82, s82, 0xffffff                               // 000000008F40: 8652FF52 00FFFFFF
	s_cmp_lt_u32 s82, s66                                      // 000000008F48: BF0A4252
	s_cselect_b32 s21, s36, s60                                // 000000008F4C: 85153C24
	s_mov_b64 exec, s[20:21]                                   // 000000008F50: BEFE0114
	global_atomic_add_f32 v6, v118, s[8:9] offset:8            // 000000008F54: DD348008 00087606
	global_atomic_add_f32 v6, v122, s[8:9] offset:264          // 000000008F5C: DD348108 00087A06
	global_atomic_add_f32 v6, v126, s[8:9] offset:520          // 000000008F64: DD348208 00087E06
	global_atomic_add_f32 v6, v130, s[8:9] offset:776          // 000000008F6C: DD348308 00088206
	s_mov_b64 exec, s[36:37]                                   // 000000008F74: BEFE0124
	v_mov_b32_e32 v6, v45                                      // 000000008F78: 7E0C032D
	s_mov_b64 s[60:61], 0                                      // 000000008F7C: BEBC0180
	v_readlane_b32 s82, v3, 6                                  // 000000008F80: D2890052 00010D03
	s_and_b32 s82, s82, 0xffffff                               // 000000008F88: 8652FF52 00FFFFFF
	s_cmp_lt_u32 s82, s66                                      // 000000008F90: BF0A4252
	s_cselect_b32 s20, s36, s60                                // 000000008F94: 85143C24
	v_readlane_b32 s82, v3, 7                                  // 000000008F98: D2890052 00010F03
	s_and_b32 s82, s82, 0xffffff                               // 000000008FA0: 8652FF52 00FFFFFF
	s_cmp_lt_u32 s82, s66                                      // 000000008FA8: BF0A4252
	s_cselect_b32 s21, s36, s60                                // 000000008FAC: 85153C24
	s_mov_b64 exec, s[20:21]                                   // 000000008FB0: BEFE0114
	global_atomic_add_f32 v6, v119, s[8:9] offset:8            // 000000008FB4: DD348008 00087706
	global_atomic_add_f32 v6, v123, s[8:9] offset:264          // 000000008FBC: DD348108 00087B06
	global_atomic_add_f32 v6, v127, s[8:9] offset:520          // 000000008FC4: DD348208 00087F06
	global_atomic_add_f32 v6, v131, s[8:9] offset:776          // 000000008FCC: DD348308 00088306
	s_mov_b64 exec, s[36:37]                                   // 000000008FD4: BEFE0124
	v_mov_b32_e32 v6, v46                                      // 000000008FD8: 7E0C032E
	s_mov_b64 s[60:61], 0                                      // 000000008FDC: BEBC0180
	v_readlane_b32 s82, v3, 8                                  // 000000008FE0: D2890052 00011103
	s_and_b32 s82, s82, 0xffffff                               // 000000008FE8: 8652FF52 00FFFFFF
	s_cmp_lt_u32 s82, s66                                      // 000000008FF0: BF0A4252
	s_cselect_b32 s20, s36, s60                                // 000000008FF4: 85143C24
	v_readlane_b32 s82, v3, 9                                  // 000000008FF8: D2890052 00011303
	s_and_b32 s82, s82, 0xffffff                               // 000000009000: 8652FF52 00FFFFFF
	s_cmp_lt_u32 s82, s66                                      // 000000009008: BF0A4252
	s_cselect_b32 s21, s36, s60                                // 00000000900C: 85153C24
	s_mov_b64 exec, s[20:21]                                   // 000000009010: BEFE0114
	global_atomic_add_f32 v6, v134, s[8:9] offset:8            // 000000009014: DD348008 00088606
	global_atomic_add_f32 v6, v138, s[8:9] offset:264          // 00000000901C: DD348108 00088A06
	global_atomic_add_f32 v6, v142, s[8:9] offset:520          // 000000009024: DD348208 00088E06
	global_atomic_add_f32 v6, v146, s[8:9] offset:776          // 00000000902C: DD348308 00089206
	s_mov_b64 exec, s[36:37]                                   // 000000009034: BEFE0124
	v_mov_b32_e32 v6, v47                                      // 000000009038: 7E0C032F
	s_mov_b64 s[60:61], 0                                      // 00000000903C: BEBC0180
	v_readlane_b32 s82, v3, 10                                 // 000000009040: D2890052 00011503
	s_and_b32 s82, s82, 0xffffff                               // 000000009048: 8652FF52 00FFFFFF
	s_cmp_lt_u32 s82, s66                                      // 000000009050: BF0A4252
	s_cselect_b32 s20, s36, s60                                // 000000009054: 85143C24
	v_readlane_b32 s82, v3, 11                                 // 000000009058: D2890052 00011703
	s_and_b32 s82, s82, 0xffffff                               // 000000009060: 8652FF52 00FFFFFF
	s_cmp_lt_u32 s82, s66                                      // 000000009068: BF0A4252
	s_cselect_b32 s21, s36, s60                                // 00000000906C: 85153C24
	s_mov_b64 exec, s[20:21]                                   // 000000009070: BEFE0114
	global_atomic_add_f32 v6, v135, s[8:9] offset:8            // 000000009074: DD348008 00088706
	global_atomic_add_f32 v6, v139, s[8:9] offset:264          // 00000000907C: DD348108 00088B06
	global_atomic_add_f32 v6, v143, s[8:9] offset:520          // 000000009084: DD348208 00088F06
	global_atomic_add_f32 v6, v147, s[8:9] offset:776          // 00000000908C: DD348308 00089306
	s_mov_b64 exec, s[36:37]                                   // 000000009094: BEFE0124
	s_branch label_30DE                                        // 000000009098: BF821734

000000000000909c <label_19AA>:
	s_waitcnt vmcnt(18) lgkmcnt(0)                             // 00000000909C: BF8C4072
	v_mul_f32_dpp v4, v24, v33 row_newbcast:0 row_mask:0xf bank_mask:0xf// 0000000090A0: 0A0842FA FF015018
	v_mfma_f32_16x16x32_fp8_fp8 v[8:11], a[48:49], a[0:1], 0   // 0000000090A8: D3F30008 1A020130
	buffer_load_dword v25, v22, s[32:35], 0 offen              // 0000000090B0: E0501000 80081916
	buffer_load_dwordx4 a[112:115], v48, s[24:27], 0 offen     // 0000000090B8: E05C1000 80867030
	v_mfma_f32_16x16x32_fp8_fp8 v[8:11], a[50:51], a[2:3], v[8:11]// 0000000090C0: D3F30008 1C220532
	v_mfma_f32_16x16x32_fp8_fp8 v[8:11], a[52:53], a[4:5], v[8:11]// 0000000090C8: D3F30008 1C220934
	v_mfma_f32_16x16x32_fp8_fp8 v[8:11], a[54:55], a[6:7], v[8:11]// 0000000090D0: D3F30008 1C220D36
	v_mfma_f32_16x16x32_fp8_fp8 v[12:15], a[56:57], a[0:1], 0  // 0000000090D8: D3F3000C 1A020138
	buffer_load_dwordx4 a[116:119], v48, s[24:27], 0 offen offset:1024// 0000000090E0: E05C1400 80867430
	v_mfma_f32_16x16x32_fp8_fp8 v[12:15], a[58:59], a[2:3], v[12:15]// 0000000090E8: D3F3000C 1C32053A
	v_mfma_f32_16x16x32_fp8_fp8 v[12:15], a[60:61], a[4:5], v[12:15]// 0000000090F0: D3F3000C 1C32093C
	v_mfma_f32_16x16x32_fp8_fp8 v[12:15], a[62:63], a[6:7], v[12:15]// 0000000090F8: D3F3000C 1C320D3E
	v_fma_f32 v52, v8, v4, v52                                 // 000000009100: D1CB0034 04D20908
	v_fma_f32 v53, v9, v4, v53                                 // 000000009108: D1CB0035 04D60909
	v_fma_f32 v54, v10, v4, v54                                // 000000009110: D1CB0036 04DA090A
	v_fma_f32 v55, v11, v4, v55                                // 000000009118: D1CB0037 04DE090B
	v_mul_f32_dpp v6, v24, v33 row_newbcast:1 row_mask:0xf bank_mask:0xf// 000000009120: 0A0C42FA FF015118
	v_mfma_f32_16x16x32_fp8_fp8 v[8:11], a[64:65], a[0:1], 0   // 000000009128: D3F30008 1A020140
	buffer_load_dwordx4 a[120:123], v49, s[24:27], 0 offen     // 000000009130: E05C1000 80867831
	v_mfma_f32_16x16x32_fp8_fp8 v[8:11], a[66:67], a[2:3], v[8:11]// 000000009138: D3F30008 1C220542
	v_mfma_f32_16x16x32_fp8_fp8 v[8:11], a[68:69], a[4:5], v[8:11]// 000000009140: D3F30008 1C220944
	v_mfma_f32_16x16x32_fp8_fp8 v[8:11], a[70:71], a[6:7], v[8:11]// 000000009148: D3F30008 1C220D46
	v_fma_f32 v64, v12, v4, v64                                // 000000009150: D1CB0040 0502090C
	v_fma_f32 v65, v13, v4, v65                                // 000000009158: D1CB0041 0506090D
	v_fma_f32 v66, v14, v4, v66                                // 000000009160: D1CB0042 050A090E
	v_fma_f32 v67, v15, v4, v67                                // 000000009168: D1CB0043 050E090F
	v_mfma_f32_16x16x32_fp8_fp8 v[12:15], a[72:73], a[0:1], 0  // 000000009170: D3F3000C 1A020148
	buffer_load_dwordx4 a[124:127], v49, s[24:27], 0 offen offset:1024// 000000009178: E05C1400 80867C31
	v_mfma_f32_16x16x32_fp8_fp8 v[12:15], a[74:75], a[2:3], v[12:15]// 000000009180: D3F3000C 1C32054A
	v_mfma_f32_16x16x32_fp8_fp8 v[12:15], a[76:77], a[4:5], v[12:15]// 000000009188: D3F3000C 1C32094C
	v_mfma_f32_16x16x32_fp8_fp8 v[12:15], a[78:79], a[6:7], v[12:15]// 000000009190: D3F3000C 1C320D4E
	v_fma_f32 v76, v8, v6, v76                                 // 000000009198: D1CB004C 05320D08
	v_fma_f32 v77, v9, v6, v77                                 // 0000000091A0: D1CB004D 05360D09
	v_fma_f32 v78, v10, v6, v78                                // 0000000091A8: D1CB004E 053A0D0A
	v_fma_f32 v79, v11, v6, v79                                // 0000000091B0: D1CB004F 053E0D0B
	v_mul_f32_dpp v4, v24, v34 row_newbcast:0 row_mask:0xf bank_mask:0xf// 0000000091B8: 0A0844FA FF015018
	v_mfma_f32_16x16x32_fp8_fp8 v[8:11], a[48:49], a[8:9], 0   // 0000000091C0: D3F30008 1A021130
	buffer_load_dwordx4 a[128:131], v50, s[24:27], 0 offen     // 0000000091C8: E05C1000 80868032
	v_mfma_f32_16x16x32_fp8_fp8 v[8:11], a[50:51], a[10:11], v[8:11]// 0000000091D0: D3F30008 1C221532
	v_mfma_f32_16x16x32_fp8_fp8 v[8:11], a[52:53], a[12:13], v[8:11]// 0000000091D8: D3F30008 1C221934
	v_mfma_f32_16x16x32_fp8_fp8 v[8:11], a[54:55], a[14:15], v[8:11]// 0000000091E0: D3F30008 1C221D36
	v_fma_f32 v88, v12, v6, v88                                // 0000000091E8: D1CB0058 05620D0C
	v_fma_f32 v89, v13, v6, v89                                // 0000000091F0: D1CB0059 05660D0D
	v_fma_f32 v90, v14, v6, v90                                // 0000000091F8: D1CB005A 056A0D0E
	v_fma_f32 v91, v15, v6, v91                                // 000000009200: D1CB005B 056E0D0F
	v_mfma_f32_16x16x32_fp8_fp8 v[12:15], a[56:57], a[8:9], 0  // 000000009208: D3F3000C 1A021138
	buffer_load_dwordx4 a[132:135], v50, s[24:27], 0 offen offset:1024// 000000009210: E05C1400 80868432
	v_mfma_f32_16x16x32_fp8_fp8 v[12:15], a[58:59], a[10:11], v[12:15]// 000000009218: D3F3000C 1C32153A
	v_mfma_f32_16x16x32_fp8_fp8 v[12:15], a[60:61], a[12:13], v[12:15]// 000000009220: D3F3000C 1C32193C
	v_mfma_f32_16x16x32_fp8_fp8 v[12:15], a[62:63], a[14:15], v[12:15]// 000000009228: D3F3000C 1C321D3E
	v_fma_f32 v56, v8, v4, v56                                 // 000000009230: D1CB0038 04E20908
	v_fma_f32 v57, v9, v4, v57                                 // 000000009238: D1CB0039 04E60909
	v_fma_f32 v58, v10, v4, v58                                // 000000009240: D1CB003A 04EA090A
	v_fma_f32 v59, v11, v4, v59                                // 000000009248: D1CB003B 04EE090B
	v_mul_f32_dpp v6, v24, v34 row_newbcast:1 row_mask:0xf bank_mask:0xf// 000000009250: 0A0C44FA FF015118
	v_mfma_f32_16x16x32_fp8_fp8 v[8:11], a[64:65], a[8:9], 0   // 000000009258: D3F30008 1A021140
	buffer_load_dwordx4 a[136:139], v51, s[24:27], 0 offen     // 000000009260: E05C1000 80868833
	v_mfma_f32_16x16x32_fp8_fp8 v[8:11], a[66:67], a[10:11], v[8:11]// 000000009268: D3F30008 1C221542
	v_mfma_f32_16x16x32_fp8_fp8 v[8:11], a[68:69], a[12:13], v[8:11]// 000000009270: D3F30008 1C221944
	v_mfma_f32_16x16x32_fp8_fp8 v[8:11], a[70:71], a[14:15], v[8:11]// 000000009278: D3F30008 1C221D46
	v_fma_f32 v68, v12, v4, v68                                // 000000009280: D1CB0044 0512090C
	v_fma_f32 v69, v13, v4, v69                                // 000000009288: D1CB0045 0516090D
	v_fma_f32 v70, v14, v4, v70                                // 000000009290: D1CB0046 051A090E
	v_fma_f32 v71, v15, v4, v71                                // 000000009298: D1CB0047 051E090F
	v_mfma_f32_16x16x32_fp8_fp8 v[12:15], a[72:73], a[8:9], 0  // 0000000092A0: D3F3000C 1A021148
	buffer_load_dwordx4 a[140:143], v51, s[24:27], 0 offen offset:1024// 0000000092A8: E05C1400 80868C33
	buffer_load_dword v42, s[20:23], 0 offen lds               // 0000000092B0: E0511000 8005002A
	s_add_u32 m0, 0x100, s50                                   // 0000000092B8: 807C32FF 00000100
	v_mfma_f32_16x16x32_fp8_fp8 v[12:15], a[74:75], a[10:11], v[12:15]// 0000000092C0: D3F3000C 1C32154A
	v_mfma_f32_16x16x32_fp8_fp8 v[12:15], a[76:77], a[12:13], v[12:15]// 0000000092C8: D3F3000C 1C32194C
	buffer_load_dword v43, s[20:23], 0 offen lds               // 0000000092D0: E0511000 8005002B
	s_add_u32 m0, 0x200, s50                                   // 0000000092D8: 807C32FF 00000200
	v_mfma_f32_16x16x32_fp8_fp8 v[12:15], a[78:79], a[14:15], v[12:15]// 0000000092E0: D3F3000C 1C321D4E
	v_fma_f32 v80, v8, v6, v80                                 // 0000000092E8: D1CB0050 05420D08
	v_fma_f32 v81, v9, v6, v81                                 // 0000000092F0: D1CB0051 05460D09
	v_fma_f32 v82, v10, v6, v82                                // 0000000092F8: D1CB0052 054A0D0A
	v_fma_f32 v83, v11, v6, v83                                // 000000009300: D1CB0053 054E0D0B
	v_mul_f32_dpp v4, v24, v35 row_newbcast:0 row_mask:0xf bank_mask:0xf// 000000009308: 0A0846FA FF015018
	v_mfma_f32_16x16x32_fp8_fp8 v[8:11], a[48:49], a[16:17], 0 // 000000009310: D3F30008 1A022130
	buffer_load_dword v44, s[20:23], 0 offen lds               // 000000009318: E0511000 8005002C
	s_add_u32 m0, 0x300, s50                                   // 000000009320: 807C32FF 00000300
	v_mfma_f32_16x16x32_fp8_fp8 v[8:11], a[50:51], a[18:19], v[8:11]// 000000009328: D3F30008 1C222532
	v_mfma_f32_16x16x32_fp8_fp8 v[8:11], a[52:53], a[20:21], v[8:11]// 000000009330: D3F30008 1C222934
	buffer_load_dword v45, s[20:23], 0 offen lds               // 000000009338: E0511000 8005002D
	s_add_u32 m0, 0x400, s50                                   // 000000009340: 807C32FF 00000400
	v_mfma_f32_16x16x32_fp8_fp8 v[8:11], a[54:55], a[22:23], v[8:11]// 000000009348: D3F30008 1C222D36
	v_fma_f32 v92, v12, v6, v92                                // 000000009350: D1CB005C 05720D0C
	v_fma_f32 v93, v13, v6, v93                                // 000000009358: D1CB005D 05760D0D
	v_fma_f32 v94, v14, v6, v94                                // 000000009360: D1CB005E 057A0D0E
	v_fma_f32 v95, v15, v6, v95                                // 000000009368: D1CB005F 057E0D0F
	v_mfma_f32_16x16x32_fp8_fp8 v[12:15], a[56:57], a[16:17], 0// 000000009370: D3F3000C 1A022138
	buffer_load_dword v46, s[20:23], 0 offen lds               // 000000009378: E0511000 8005002E
	s_add_u32 m0, 0x500, s50                                   // 000000009380: 807C32FF 00000500
	v_mfma_f32_16x16x32_fp8_fp8 v[12:15], a[58:59], a[18:19], v[12:15]// 000000009388: D3F3000C 1C32253A
	v_mfma_f32_16x16x32_fp8_fp8 v[12:15], a[60:61], a[20:21], v[12:15]// 000000009390: D3F3000C 1C32293C
	buffer_load_dword v47, s[20:23], 0 offen lds               // 000000009398: E0511000 8005002F
	s_add_u32 m0, 0, s48                                       // 0000000093A0: 807C3080
	v_mfma_f32_16x16x32_fp8_fp8 v[12:15], a[62:63], a[22:23], v[12:15]// 0000000093A4: D3F3000C 1C322D3E
	v_fma_f32 v60, v8, v4, v60                                 // 0000000093AC: D1CB003C 04F20908
	v_fma_f32 v61, v9, v4, v61                                 // 0000000093B4: D1CB003D 04F60909
	v_fma_f32 v62, v10, v4, v62                                // 0000000093BC: D1CB003E 04FA090A
	v_fma_f32 v63, v11, v4, v63                                // 0000000093C4: D1CB003F 04FE090B
	v_mul_f32_dpp v6, v24, v35 row_newbcast:1 row_mask:0xf bank_mask:0xf// 0000000093CC: 0A0C46FA FF015118
	v_mfma_f32_16x16x32_fp8_fp8 v[8:11], a[64:65], a[16:17], 0 // 0000000093D4: D3F30008 1A022140
	buffer_load_dword v39, v30, s[28:31], 0 offen              // 0000000093DC: E0501000 8007271E
	v_mfma_f32_16x16x32_fp8_fp8 v[8:11], a[66:67], a[18:19], v[8:11]// 0000000093E4: D3F30008 1C222542
	v_mfma_f32_16x16x32_fp8_fp8 v[8:11], a[68:69], a[20:21], v[8:11]// 0000000093EC: D3F30008 1C222944
	buffer_load_dword v40, v31, s[28:31], 0 offen              // 0000000093F4: E0501000 8007281F
	v_mfma_f32_16x16x32_fp8_fp8 v[8:11], a[70:71], a[22:23], v[8:11]// 0000000093FC: D3F30008 1C222D46
	v_fma_f32 v72, v12, v4, v72                                // 000000009404: D1CB0048 0522090C
	v_fma_f32 v73, v13, v4, v73                                // 00000000940C: D1CB0049 0526090D
	v_fma_f32 v74, v14, v4, v74                                // 000000009414: D1CB004A 052A090E
	v_fma_f32 v75, v15, v4, v75                                // 00000000941C: D1CB004B 052E090F
	v_mfma_f32_16x16x32_fp8_fp8 v[12:15], a[72:73], a[16:17], 0// 000000009424: D3F3000C 1A022148
	buffer_load_dword v41, v32, s[28:31], 0 offen              // 00000000942C: E0501000 80072920
	v_mfma_f32_16x16x32_fp8_fp8 v[12:15], a[74:75], a[18:19], v[12:15]// 000000009434: D3F3000C 1C32254A
	v_mfma_f32_16x16x32_fp8_fp8 v[12:15], a[76:77], a[20:21], v[12:15]// 00000000943C: D3F3000C 1C32294C
	v_mfma_f32_16x16x32_fp8_fp8 v[12:15], a[78:79], a[22:23], v[12:15]// 000000009444: D3F3000C 1C322D4E
	v_fma_f32 v84, v8, v6, v84                                 // 00000000944C: D1CB0054 05520D08
	v_fma_f32 v85, v9, v6, v85                                 // 000000009454: D1CB0055 05560D09
	v_fma_f32 v86, v10, v6, v86                                // 00000000945C: D1CB0056 055A0D0A
	v_fma_f32 v87, v11, v6, v87                                // 000000009464: D1CB0057 055E0D0B
	v_fma_f32 v96, v12, v6, v96                                // 00000000946C: D1CB0060 05820D0C
	v_fma_f32 v97, v13, v6, v97                                // 000000009474: D1CB0061 05860D0D
	v_fma_f32 v98, v14, v6, v98                                // 00000000947C: D1CB0062 058A0D0E
	v_fma_f32 v99, v15, v6, v99                                // 000000009484: D1CB0063 058E0D0F
	s_waitcnt vmcnt(18)                                        // 00000000948C: BF8C4F72
	s_barrier                                                  // 000000009490: BF8A0000
	v_mul_f32_dpp v4, v27, v33 row_newbcast:0 row_mask:0xf bank_mask:0xf// 000000009494: 0A0842FA FF01501B
	v_mfma_f32_16x16x32_fp8_fp8 v[8:11], a[80:81], a[0:1], 0   // 00000000949C: D3F30008 1A020150
	buffer_load_dword v28, v23, s[32:35], 0 offen              // 0000000094A4: E0501000 80081C17
	buffer_load_dwordx4 a[48:51], v48, s[84:87], 0 offen       // 0000000094AC: E05C1000 80953030
	v_mfma_f32_16x16x32_fp8_fp8 v[8:11], a[82:83], a[2:3], v[8:11]// 0000000094B4: D3F30008 1C220552
	v_mfma_f32_16x16x32_fp8_fp8 v[8:11], a[84:85], a[4:5], v[8:11]// 0000000094BC: D3F30008 1C220954
	ds_read_b128 a[24:27], v2 offset:6272                      // 0000000094C4: DBFE1880 18000002
	ds_read_b128 a[28:31], v2 offset:6336                      // 0000000094CC: DBFE18C0 1C000002
	v_mfma_f32_16x16x32_fp8_fp8 v[8:11], a[86:87], a[6:7], v[8:11]// 0000000094D4: D3F30008 1C220D56
	v_mfma_f32_16x16x32_fp8_fp8 v[12:15], a[88:89], a[0:1], 0  // 0000000094DC: D3F3000C 1A020158
	buffer_load_dwordx4 a[52:55], v48, s[84:87], 0 offen offset:1024// 0000000094E4: E05C1400 80953430
	v_mfma_f32_16x16x32_fp8_fp8 v[12:15], a[90:91], a[2:3], v[12:15]// 0000000094EC: D3F3000C 1C32055A
	v_mfma_f32_16x16x32_fp8_fp8 v[12:15], a[92:93], a[4:5], v[12:15]// 0000000094F4: D3F3000C 1C32095C
	ds_read_b128 a[32:35], v2 offset:6784                      // 0000000094FC: DBFE1A80 20000002
	ds_read_b128 a[36:39], v2 offset:6848                      // 000000009504: DBFE1AC0 24000002
	v_mfma_f32_16x16x32_fp8_fp8 v[12:15], a[94:95], a[6:7], v[12:15]// 00000000950C: D3F3000C 1C320D5E
	v_fma_f32 v100, v8, v4, v100                               // 000000009514: D1CB0064 05920908
	v_fma_f32 v101, v9, v4, v101                               // 00000000951C: D1CB0065 05960909
	v_fma_f32 v102, v10, v4, v102                              // 000000009524: D1CB0066 059A090A
	v_fma_f32 v103, v11, v4, v103                              // 00000000952C: D1CB0067 059E090B
	v_mul_f32_dpp v6, v27, v33 row_newbcast:1 row_mask:0xf bank_mask:0xf// 000000009534: 0A0C42FA FF01511B
	v_mfma_f32_16x16x32_fp8_fp8 v[8:11], a[96:97], a[0:1], 0   // 00000000953C: D3F30008 1A020160
	buffer_load_dwordx4 a[56:59], v49, s[84:87], 0 offen       // 000000009544: E05C1000 80953831
	v_mfma_f32_16x16x32_fp8_fp8 v[8:11], a[98:99], a[2:3], v[8:11]// 00000000954C: D3F30008 1C220562
	v_mfma_f32_16x16x32_fp8_fp8 v[8:11], a[100:101], a[4:5], v[8:11]// 000000009554: D3F30008 1C220964
	ds_read_b128 a[40:43], v2 offset:7296                      // 00000000955C: DBFE1C80 28000002
	ds_read_b128 a[44:47], v2 offset:7360                      // 000000009564: DBFE1CC0 2C000002
	v_mfma_f32_16x16x32_fp8_fp8 v[8:11], a[102:103], a[6:7], v[8:11]// 00000000956C: D3F30008 1C220D66
	v_fma_f32 v112, v12, v4, v112                              // 000000009574: D1CB0070 05C2090C
	v_fma_f32 v113, v13, v4, v113                              // 00000000957C: D1CB0071 05C6090D
	v_fma_f32 v114, v14, v4, v114                              // 000000009584: D1CB0072 05CA090E
	v_fma_f32 v115, v15, v4, v115                              // 00000000958C: D1CB0073 05CE090F
	v_mfma_f32_16x16x32_fp8_fp8 v[12:15], a[104:105], a[0:1], 0// 000000009594: D3F3000C 1A020168
	buffer_load_dwordx4 a[60:63], v49, s[84:87], 0 offen offset:1024// 00000000959C: E05C1400 80953C31
	v_mfma_f32_16x16x32_fp8_fp8 v[12:15], a[106:107], a[2:3], v[12:15]// 0000000095A4: D3F3000C 1C32056A
	v_mfma_f32_16x16x32_fp8_fp8 v[12:15], a[108:109], a[4:5], v[12:15]// 0000000095AC: D3F3000C 1C32096C
	v_mfma_f32_16x16x32_fp8_fp8 v[12:15], a[110:111], a[6:7], v[12:15]// 0000000095B4: D3F3000C 1C320D6E
	v_fma_f32 v124, v8, v6, v124                               // 0000000095BC: D1CB007C 05F20D08
	v_fma_f32 v125, v9, v6, v125                               // 0000000095C4: D1CB007D 05F60D09
	v_fma_f32 v126, v10, v6, v126                              // 0000000095CC: D1CB007E 05FA0D0A
	v_fma_f32 v127, v11, v6, v127                              // 0000000095D4: D1CB007F 05FE0D0B
	v_mul_f32_dpp v4, v27, v34 row_newbcast:0 row_mask:0xf bank_mask:0xf// 0000000095DC: 0A0844FA FF01501B
	v_mfma_f32_16x16x32_fp8_fp8 v[8:11], a[80:81], a[8:9], 0   // 0000000095E4: D3F30008 1A021150
	buffer_load_dwordx4 a[64:67], v50, s[84:87], 0 offen       // 0000000095EC: E05C1000 80954032
	v_mfma_f32_16x16x32_fp8_fp8 v[8:11], a[82:83], a[10:11], v[8:11]// 0000000095F4: D3F30008 1C221552
	v_mfma_f32_16x16x32_fp8_fp8 v[8:11], a[84:85], a[12:13], v[8:11]// 0000000095FC: D3F30008 1C221954
	v_mfma_f32_16x16x32_fp8_fp8 v[8:11], a[86:87], a[14:15], v[8:11]// 000000009604: D3F30008 1C221D56
	v_fma_f32 v136, v12, v6, v136                              // 00000000960C: D1CB0088 06220D0C
	v_fma_f32 v137, v13, v6, v137                              // 000000009614: D1CB0089 06260D0D
	v_fma_f32 v138, v14, v6, v138                              // 00000000961C: D1CB008A 062A0D0E
	v_fma_f32 v139, v15, v6, v139                              // 000000009624: D1CB008B 062E0D0F
	v_mfma_f32_16x16x32_fp8_fp8 v[12:15], a[88:89], a[8:9], 0  // 00000000962C: D3F3000C 1A021158
	buffer_load_dwordx4 a[68:71], v50, s[84:87], 0 offen offset:1024// 000000009634: E05C1400 80954432
	v_mfma_f32_16x16x32_fp8_fp8 v[12:15], a[90:91], a[10:11], v[12:15]// 00000000963C: D3F3000C 1C32155A
	v_mfma_f32_16x16x32_fp8_fp8 v[12:15], a[92:93], a[12:13], v[12:15]// 000000009644: D3F3000C 1C32195C
	v_mfma_f32_16x16x32_fp8_fp8 v[12:15], a[94:95], a[14:15], v[12:15]// 00000000964C: D3F3000C 1C321D5E
	v_fma_f32 v104, v8, v4, v104                               // 000000009654: D1CB0068 05A20908
	v_fma_f32 v105, v9, v4, v105                               // 00000000965C: D1CB0069 05A60909
	v_fma_f32 v106, v10, v4, v106                              // 000000009664: D1CB006A 05AA090A
	v_fma_f32 v107, v11, v4, v107                              // 00000000966C: D1CB006B 05AE090B
	v_mul_f32_dpp v6, v27, v34 row_newbcast:1 row_mask:0xf bank_mask:0xf// 000000009674: 0A0C44FA FF01511B
	v_mfma_f32_16x16x32_fp8_fp8 v[8:11], a[96:97], a[8:9], 0   // 00000000967C: D3F30008 1A021160
	buffer_load_dwordx4 a[72:75], v51, s[84:87], 0 offen       // 000000009684: E05C1000 80954833
	v_mfma_f32_16x16x32_fp8_fp8 v[8:11], a[98:99], a[10:11], v[8:11]// 00000000968C: D3F30008 1C221562
	v_mfma_f32_16x16x32_fp8_fp8 v[8:11], a[100:101], a[12:13], v[8:11]// 000000009694: D3F30008 1C221964
	v_mfma_f32_16x16x32_fp8_fp8 v[8:11], a[102:103], a[14:15], v[8:11]// 00000000969C: D3F30008 1C221D66
	v_fma_f32 v116, v12, v4, v116                              // 0000000096A4: D1CB0074 05D2090C
	v_fma_f32 v117, v13, v4, v117                              // 0000000096AC: D1CB0075 05D6090D
	v_fma_f32 v118, v14, v4, v118                              // 0000000096B4: D1CB0076 05DA090E
	v_fma_f32 v119, v15, v4, v119                              // 0000000096BC: D1CB0077 05DE090F
	v_mfma_f32_16x16x32_fp8_fp8 v[12:15], a[104:105], a[8:9], 0// 0000000096C4: D3F3000C 1A021168
	buffer_load_dwordx4 a[76:79], v51, s[84:87], 0 offen offset:1024// 0000000096CC: E05C1400 80954C33
	v_mfma_f32_16x16x32_fp8_fp8 v[12:15], a[106:107], a[10:11], v[12:15]// 0000000096D4: D3F3000C 1C32156A
	v_mfma_f32_16x16x32_fp8_fp8 v[12:15], a[108:109], a[12:13], v[12:15]// 0000000096DC: D3F3000C 1C32196C
	v_mfma_f32_16x16x32_fp8_fp8 v[12:15], a[110:111], a[14:15], v[12:15]// 0000000096E4: D3F3000C 1C321D6E
	v_fma_f32 v128, v8, v6, v128                               // 0000000096EC: D1CB0080 06020D08
	v_fma_f32 v129, v9, v6, v129                               // 0000000096F4: D1CB0081 06060D09
	v_fma_f32 v130, v10, v6, v130                              // 0000000096FC: D1CB0082 060A0D0A
	v_fma_f32 v131, v11, v6, v131                              // 000000009704: D1CB0083 060E0D0B
	v_mul_f32_dpp v4, v27, v35 row_newbcast:0 row_mask:0xf bank_mask:0xf// 00000000970C: 0A0846FA FF01501B
	v_mfma_f32_16x16x32_fp8_fp8 v[8:11], a[80:81], a[16:17], 0 // 000000009714: D3F30008 1A022150
	v_mfma_f32_16x16x32_fp8_fp8 v[8:11], a[82:83], a[18:19], v[8:11]// 00000000971C: D3F30008 1C222552
	v_mfma_f32_16x16x32_fp8_fp8 v[8:11], a[84:85], a[20:21], v[8:11]// 000000009724: D3F30008 1C222954
	v_mfma_f32_16x16x32_fp8_fp8 v[8:11], a[86:87], a[22:23], v[8:11]// 00000000972C: D3F30008 1C222D56
	v_fma_f32 v140, v12, v6, v140                              // 000000009734: D1CB008C 06320D0C
	v_fma_f32 v141, v13, v6, v141                              // 00000000973C: D1CB008D 06360D0D
	v_fma_f32 v142, v14, v6, v142                              // 000000009744: D1CB008E 063A0D0E
	v_fma_f32 v143, v15, v6, v143                              // 00000000974C: D1CB008F 063E0D0F
	v_mfma_f32_16x16x32_fp8_fp8 v[12:15], a[88:89], a[16:17], 0// 000000009754: D3F3000C 1A022158
	v_mfma_f32_16x16x32_fp8_fp8 v[12:15], a[90:91], a[18:19], v[12:15]// 00000000975C: D3F3000C 1C32255A
	v_mfma_f32_16x16x32_fp8_fp8 v[12:15], a[92:93], a[20:21], v[12:15]// 000000009764: D3F3000C 1C32295C
	v_mfma_f32_16x16x32_fp8_fp8 v[12:15], a[94:95], a[22:23], v[12:15]// 00000000976C: D3F3000C 1C322D5E
	v_fma_f32 v108, v8, v4, v108                               // 000000009774: D1CB006C 05B20908
	v_fma_f32 v109, v9, v4, v109                               // 00000000977C: D1CB006D 05B60909
	v_fma_f32 v110, v10, v4, v110                              // 000000009784: D1CB006E 05BA090A
	v_fma_f32 v111, v11, v4, v111                              // 00000000978C: D1CB006F 05BE090B
	v_mul_f32_dpp v6, v27, v35 row_newbcast:1 row_mask:0xf bank_mask:0xf// 000000009794: 0A0C46FA FF01511B
	v_mfma_f32_16x16x32_fp8_fp8 v[8:11], a[96:97], a[16:17], 0 // 00000000979C: D3F30008 1A022160
	s_add_u32 s60, 0x180, s80                                  // 0000000097A4: 803C50FF 00000180
	s_cmp_lt_u32 s60, s81                                      // 0000000097AC: BF0A513C
	s_cselect_b32 s57, s57, 0                                  // 0000000097B0: 85398039
	s_cselect_b32 s3, s3, 0                                    // 0000000097B4: 85038003
	v_mfma_f32_16x16x32_fp8_fp8 v[8:11], a[98:99], a[18:19], v[8:11]// 0000000097B8: D3F30008 1C222562
	s_add_u32 s60, 0x100, s80                                  // 0000000097C0: 803C50FF 00000100
	s_cmp_lt_u32 s60, s81                                      // 0000000097C8: BF0A513C
	s_cselect_b32 s58, s58, 0                                  // 0000000097CC: 853A803A
	v_mfma_f32_16x16x32_fp8_fp8 v[8:11], a[100:101], a[20:21], v[8:11]// 0000000097D0: D3F30008 1C222964
	s_add_u32 s60, 0x100, s80                                  // 0000000097D8: 803C50FF 00000100
	s_cmp_lt_u32 s60, s81                                      // 0000000097E0: BF0A513C
	s_cselect_b32 s83, s83, 0                                  // 0000000097E4: 85538053
	s_cselect_b32 s4, s4, 0                                    // 0000000097E8: 85048004
	v_mfma_f32_16x16x32_fp8_fp8 v[8:11], a[102:103], a[22:23], v[8:11]// 0000000097EC: D3F30008 1C222D66
	s_add_u32 s24, s58, s24                                    // 0000000097F4: 8018183A
	s_addc_u32 s25, 0, s25                                     // 0000000097F8: 82191980
	v_fma_f32 v120, v12, v4, v120                              // 0000000097FC: D1CB0078 05E2090C
	v_fma_f32 v121, v13, v4, v121                              // 000000009804: D1CB0079 05E6090D
	v_fma_f32 v122, v14, v4, v122                              // 00000000980C: D1CB007A 05EA090E
	v_fma_f32 v123, v15, v4, v123                              // 000000009814: D1CB007B 05EE090F
	v_mfma_f32_16x16x32_fp8_fp8 v[12:15], a[104:105], a[16:17], 0// 00000000981C: D3F3000C 1A022168
	s_add_u32 s20, s57, s20                                    // 000000009824: 80141439
	s_addc_u32 s21, 0, s21                                     // 000000009828: 82151580
	s_add_u32 s28, s3, s28                                     // 00000000982C: 801C1C03
	s_addc_u32 s29, 0, s29                                     // 000000009830: 821D1D80
	v_mfma_f32_16x16x32_fp8_fp8 v[12:15], a[106:107], a[18:19], v[12:15]// 000000009834: D3F3000C 1C32256A
	s_add_u32 s84, s83, s84                                    // 00000000983C: 80545453
	s_addc_u32 s85, 0, s85                                     // 000000009840: 82555580
	v_mfma_f32_16x16x32_fp8_fp8 v[12:15], a[108:109], a[20:21], v[12:15]// 000000009844: D3F3000C 1C32296C
	s_add_u32 s32, s4, s32                                     // 00000000984C: 80202004
	s_addc_u32 s33, 0, s33                                     // 000000009850: 82212180
	v_mfma_f32_16x16x32_fp8_fp8 v[12:15], a[110:111], a[22:23], v[12:15]// 000000009854: D3F3000C 1C322D6E
	v_fma_f32 v132, v8, v6, v132                               // 00000000985C: D1CB0084 06120D08
	v_fma_f32 v133, v9, v6, v133                               // 000000009864: D1CB0085 06160D09
	v_fma_f32 v134, v10, v6, v134                              // 00000000986C: D1CB0086 061A0D0A
	v_fma_f32 v135, v11, v6, v135                              // 000000009874: D1CB0087 061E0D0B
	v_fma_f32 v144, v12, v6, v144                              // 00000000987C: D1CB0090 06420D0C
	v_fma_f32 v145, v13, v6, v145                              // 000000009884: D1CB0091 06460D0D
	v_fma_f32 v146, v14, v6, v146                              // 00000000988C: D1CB0092 064A0D0E
	v_fma_f32 v147, v15, v6, v147                              // 000000009894: D1CB0093 064E0D0F
	s_addk_i32 s80, 0x80                                       // 00000000989C: B7500080
	s_cmp_lt_i32 s80, s81                                      // 0000000098A0: BF045150
	s_cbranch_scc0 label_25BD                                  // 0000000098A4: BF840A10
	s_waitcnt vmcnt(18) lgkmcnt(0)                             // 0000000098A8: BF8C4072
	v_mul_f32_dpp v4, v25, v36 row_newbcast:0 row_mask:0xf bank_mask:0xf// 0000000098AC: 0A0848FA FF015019
	v_mfma_f32_16x16x32_fp8_fp8 v[8:11], a[112:113], a[24:25], 0// 0000000098B4: D3F30008 1A023170
	buffer_load_dword v26, v22, s[32:35], 0 offen              // 0000000098BC: E0501000 80081A16
	buffer_load_dwordx4 a[80:83], v48, s[24:27], 0 offen       // 0000000098C4: E05C1000 80865030
	v_mfma_f32_16x16x32_fp8_fp8 v[8:11], a[114:115], a[26:27], v[8:11]// 0000000098CC: D3F30008 1C223572
	v_mfma_f32_16x16x32_fp8_fp8 v[8:11], a[116:117], a[28:29], v[8:11]// 0000000098D4: D3F30008 1C223974
	v_mfma_f32_16x16x32_fp8_fp8 v[8:11], a[118:119], a[30:31], v[8:11]// 0000000098DC: D3F30008 1C223D76
	v_mfma_f32_16x16x32_fp8_fp8 v[12:15], a[120:121], a[24:25], 0// 0000000098E4: D3F3000C 1A023178
	buffer_load_dwordx4 a[84:87], v48, s[24:27], 0 offen offset:1024// 0000000098EC: E05C1400 80865430
	v_mfma_f32_16x16x32_fp8_fp8 v[12:15], a[122:123], a[26:27], v[12:15]// 0000000098F4: D3F3000C 1C32357A
	v_mfma_f32_16x16x32_fp8_fp8 v[12:15], a[124:125], a[28:29], v[12:15]// 0000000098FC: D3F3000C 1C32397C
	v_mfma_f32_16x16x32_fp8_fp8 v[12:15], a[126:127], a[30:31], v[12:15]// 000000009904: D3F3000C 1C323D7E
	v_fma_f32 v52, v8, v4, v52                                 // 00000000990C: D1CB0034 04D20908
	v_fma_f32 v53, v9, v4, v53                                 // 000000009914: D1CB0035 04D60909
	v_fma_f32 v54, v10, v4, v54                                // 00000000991C: D1CB0036 04DA090A
	v_fma_f32 v55, v11, v4, v55                                // 000000009924: D1CB0037 04DE090B
	v_mul_f32_dpp v6, v25, v36 row_newbcast:1 row_mask:0xf bank_mask:0xf// 00000000992C: 0A0C48FA FF015119
	v_mfma_f32_16x16x32_fp8_fp8 v[8:11], a[128:129], a[24:25], 0// 000000009934: D3F30008 1A023180
	buffer_load_dwordx4 a[88:91], v49, s[24:27], 0 offen       // 00000000993C: E05C1000 80865831
	v_mfma_f32_16x16x32_fp8_fp8 v[8:11], a[130:131], a[26:27], v[8:11]// 000000009944: D3F30008 1C223582
	v_mfma_f32_16x16x32_fp8_fp8 v[8:11], a[132:133], a[28:29], v[8:11]// 00000000994C: D3F30008 1C223984
	v_mfma_f32_16x16x32_fp8_fp8 v[8:11], a[134:135], a[30:31], v[8:11]// 000000009954: D3F30008 1C223D86
	v_fma_f32 v64, v12, v4, v64                                // 00000000995C: D1CB0040 0502090C
	v_fma_f32 v65, v13, v4, v65                                // 000000009964: D1CB0041 0506090D
	v_fma_f32 v66, v14, v4, v66                                // 00000000996C: D1CB0042 050A090E
	v_fma_f32 v67, v15, v4, v67                                // 000000009974: D1CB0043 050E090F
	v_mfma_f32_16x16x32_fp8_fp8 v[12:15], a[136:137], a[24:25], 0// 00000000997C: D3F3000C 1A023188
	buffer_load_dwordx4 a[92:95], v49, s[24:27], 0 offen offset:1024// 000000009984: E05C1400 80865C31
	v_mfma_f32_16x16x32_fp8_fp8 v[12:15], a[138:139], a[26:27], v[12:15]// 00000000998C: D3F3000C 1C32358A
	v_mfma_f32_16x16x32_fp8_fp8 v[12:15], a[140:141], a[28:29], v[12:15]// 000000009994: D3F3000C 1C32398C
	v_mfma_f32_16x16x32_fp8_fp8 v[12:15], a[142:143], a[30:31], v[12:15]// 00000000999C: D3F3000C 1C323D8E
	v_fma_f32 v76, v8, v6, v76                                 // 0000000099A4: D1CB004C 05320D08
	v_fma_f32 v77, v9, v6, v77                                 // 0000000099AC: D1CB004D 05360D09
	v_fma_f32 v78, v10, v6, v78                                // 0000000099B4: D1CB004E 053A0D0A
	v_fma_f32 v79, v11, v6, v79                                // 0000000099BC: D1CB004F 053E0D0B
	v_mul_f32_dpp v4, v25, v37 row_newbcast:0 row_mask:0xf bank_mask:0xf// 0000000099C4: 0A084AFA FF015019
	v_mfma_f32_16x16x32_fp8_fp8 v[8:11], a[112:113], a[32:33], 0// 0000000099CC: D3F30008 1A024170
	buffer_load_dwordx4 a[96:99], v50, s[24:27], 0 offen       // 0000000099D4: E05C1000 80866032
	v_mfma_f32_16x16x32_fp8_fp8 v[8:11], a[114:115], a[34:35], v[8:11]// 0000000099DC: D3F30008 1C224572
	v_mfma_f32_16x16x32_fp8_fp8 v[8:11], a[116:117], a[36:37], v[8:11]// 0000000099E4: D3F30008 1C224974
	v_mfma_f32_16x16x32_fp8_fp8 v[8:11], a[118:119], a[38:39], v[8:11]// 0000000099EC: D3F30008 1C224D76
	v_fma_f32 v88, v12, v6, v88                                // 0000000099F4: D1CB0058 05620D0C
	v_fma_f32 v89, v13, v6, v89                                // 0000000099FC: D1CB0059 05660D0D
	v_fma_f32 v90, v14, v6, v90                                // 000000009A04: D1CB005A 056A0D0E
	v_fma_f32 v91, v15, v6, v91                                // 000000009A0C: D1CB005B 056E0D0F
	v_mfma_f32_16x16x32_fp8_fp8 v[12:15], a[120:121], a[32:33], 0// 000000009A14: D3F3000C 1A024178
	buffer_load_dwordx4 a[100:103], v50, s[24:27], 0 offen offset:1024// 000000009A1C: E05C1400 80866432
	v_mfma_f32_16x16x32_fp8_fp8 v[12:15], a[122:123], a[34:35], v[12:15]// 000000009A24: D3F3000C 1C32457A
	v_mfma_f32_16x16x32_fp8_fp8 v[12:15], a[124:125], a[36:37], v[12:15]// 000000009A2C: D3F3000C 1C32497C
	v_mfma_f32_16x16x32_fp8_fp8 v[12:15], a[126:127], a[38:39], v[12:15]// 000000009A34: D3F3000C 1C324D7E
	v_fma_f32 v56, v8, v4, v56                                 // 000000009A3C: D1CB0038 04E20908
	v_fma_f32 v57, v9, v4, v57                                 // 000000009A44: D1CB0039 04E60909
	v_fma_f32 v58, v10, v4, v58                                // 000000009A4C: D1CB003A 04EA090A
	v_fma_f32 v59, v11, v4, v59                                // 000000009A54: D1CB003B 04EE090B
	v_mul_f32_dpp v6, v25, v37 row_newbcast:1 row_mask:0xf bank_mask:0xf// 000000009A5C: 0A0C4AFA FF015119
	v_mfma_f32_16x16x32_fp8_fp8 v[8:11], a[128:129], a[32:33], 0// 000000009A64: D3F30008 1A024180
	buffer_load_dwordx4 a[104:107], v51, s[24:27], 0 offen     // 000000009A6C: E05C1000 80866833
	v_mfma_f32_16x16x32_fp8_fp8 v[8:11], a[130:131], a[34:35], v[8:11]// 000000009A74: D3F30008 1C224582
	v_mfma_f32_16x16x32_fp8_fp8 v[8:11], a[132:133], a[36:37], v[8:11]// 000000009A7C: D3F30008 1C224984
	v_mfma_f32_16x16x32_fp8_fp8 v[8:11], a[134:135], a[38:39], v[8:11]// 000000009A84: D3F30008 1C224D86
	v_fma_f32 v68, v12, v4, v68                                // 000000009A8C: D1CB0044 0512090C
	v_fma_f32 v69, v13, v4, v69                                // 000000009A94: D1CB0045 0516090D
	v_fma_f32 v70, v14, v4, v70                                // 000000009A9C: D1CB0046 051A090E
	v_fma_f32 v71, v15, v4, v71                                // 000000009AA4: D1CB0047 051E090F
	v_mfma_f32_16x16x32_fp8_fp8 v[12:15], a[136:137], a[32:33], 0// 000000009AAC: D3F3000C 1A024188
	buffer_load_dwordx4 a[108:111], v51, s[24:27], 0 offen offset:1024// 000000009AB4: E05C1400 80866C33
	buffer_load_dword v42, s[20:23], 0 offen lds               // 000000009ABC: E0511000 8005002A
	s_add_u32 m0, 0x100, s48                                   // 000000009AC4: 807C30FF 00000100
	v_mfma_f32_16x16x32_fp8_fp8 v[12:15], a[138:139], a[34:35], v[12:15]// 000000009ACC: D3F3000C 1C32458A
	v_mfma_f32_16x16x32_fp8_fp8 v[12:15], a[140:141], a[36:37], v[12:15]// 000000009AD4: D3F3000C 1C32498C
	buffer_load_dword v43, s[20:23], 0 offen lds               // 000000009ADC: E0511000 8005002B
	s_add_u32 m0, 0x200, s48                                   // 000000009AE4: 807C30FF 00000200
	v_mfma_f32_16x16x32_fp8_fp8 v[12:15], a[142:143], a[38:39], v[12:15]// 000000009AEC: D3F3000C 1C324D8E
	v_fma_f32 v80, v8, v6, v80                                 // 000000009AF4: D1CB0050 05420D08
	v_fma_f32 v81, v9, v6, v81                                 // 000000009AFC: D1CB0051 05460D09
	v_fma_f32 v82, v10, v6, v82                                // 000000009B04: D1CB0052 054A0D0A
	v_fma_f32 v83, v11, v6, v83                                // 000000009B0C: D1CB0053 054E0D0B
	v_mul_f32_dpp v4, v25, v38 row_newbcast:0 row_mask:0xf bank_mask:0xf// 000000009B14: 0A084CFA FF015019
	v_mfma_f32_16x16x32_fp8_fp8 v[8:11], a[112:113], a[40:41], 0// 000000009B1C: D3F30008 1A025170
	buffer_load_dword v44, s[20:23], 0 offen lds               // 000000009B24: E0511000 8005002C
	s_add_u32 m0, 0x300, s48                                   // 000000009B2C: 807C30FF 00000300
	v_mfma_f32_16x16x32_fp8_fp8 v[8:11], a[114:115], a[42:43], v[8:11]// 000000009B34: D3F30008 1C225572
	v_mfma_f32_16x16x32_fp8_fp8 v[8:11], a[116:117], a[44:45], v[8:11]// 000000009B3C: D3F30008 1C225974
	buffer_load_dword v45, s[20:23], 0 offen lds               // 000000009B44: E0511000 8005002D
	s_add_u32 m0, 0x400, s48                                   // 000000009B4C: 807C30FF 00000400
	v_mfma_f32_16x16x32_fp8_fp8 v[8:11], a[118:119], a[46:47], v[8:11]// 000000009B54: D3F30008 1C225D76
	v_fma_f32 v92, v12, v6, v92                                // 000000009B5C: D1CB005C 05720D0C
	v_fma_f32 v93, v13, v6, v93                                // 000000009B64: D1CB005D 05760D0D
	v_fma_f32 v94, v14, v6, v94                                // 000000009B6C: D1CB005E 057A0D0E
	v_fma_f32 v95, v15, v6, v95                                // 000000009B74: D1CB005F 057E0D0F
	v_mfma_f32_16x16x32_fp8_fp8 v[12:15], a[120:121], a[40:41], 0// 000000009B7C: D3F3000C 1A025178
	buffer_load_dword v46, s[20:23], 0 offen lds               // 000000009B84: E0511000 8005002E
	s_add_u32 m0, 0x500, s48                                   // 000000009B8C: 807C30FF 00000500
	v_mfma_f32_16x16x32_fp8_fp8 v[12:15], a[122:123], a[42:43], v[12:15]// 000000009B94: D3F3000C 1C32557A
	v_mfma_f32_16x16x32_fp8_fp8 v[12:15], a[124:125], a[44:45], v[12:15]// 000000009B9C: D3F3000C 1C32597C
	buffer_load_dword v47, s[20:23], 0 offen lds               // 000000009BA4: E0511000 8005002F
	s_add_u32 m0, 0, s49                                       // 000000009BAC: 807C3180
	v_mfma_f32_16x16x32_fp8_fp8 v[12:15], a[126:127], a[46:47], v[12:15]// 000000009BB0: D3F3000C 1C325D7E
	v_fma_f32 v60, v8, v4, v60                                 // 000000009BB8: D1CB003C 04F20908
	v_fma_f32 v61, v9, v4, v61                                 // 000000009BC0: D1CB003D 04F60909
	v_fma_f32 v62, v10, v4, v62                                // 000000009BC8: D1CB003E 04FA090A
	v_fma_f32 v63, v11, v4, v63                                // 000000009BD0: D1CB003F 04FE090B
	v_mul_f32_dpp v6, v25, v38 row_newbcast:1 row_mask:0xf bank_mask:0xf// 000000009BD8: 0A0C4CFA FF015119
	v_mfma_f32_16x16x32_fp8_fp8 v[8:11], a[128:129], a[40:41], 0// 000000009BE0: D3F30008 1A025180
	buffer_load_dword v33, v30, s[28:31], 0 offen              // 000000009BE8: E0501000 8007211E
	v_mfma_f32_16x16x32_fp8_fp8 v[8:11], a[130:131], a[42:43], v[8:11]// 000000009BF0: D3F30008 1C225582
	v_mfma_f32_16x16x32_fp8_fp8 v[8:11], a[132:133], a[44:45], v[8:11]// 000000009BF8: D3F30008 1C225984
	buffer_load_dword v34, v31, s[28:31], 0 offen              // 000000009C00: E0501000 8007221F
	v_mfma_f32_16x16x32_fp8_fp8 v[8:11], a[134:135], a[46:47], v[8:11]// 000000009C08: D3F30008 1C225D86
	v_fma_f32 v72, v12, v4, v72                                // 000000009C10: D1CB0048 0522090C
	v_fma_f32 v73, v13, v4, v73                                // 000000009C18: D1CB0049 0526090D
	v_fma_f32 v74, v14, v4, v74                                // 000000009C20: D1CB004A 052A090E
	v_fma_f32 v75, v15, v4, v75                                // 000000009C28: D1CB004B 052E090F
	v_mfma_f32_16x16x32_fp8_fp8 v[12:15], a[136:137], a[40:41], 0// 000000009C30: D3F3000C 1A025188
	buffer_load_dword v35, v32, s[28:31], 0 offen              // 000000009C38: E0501000 80072320
	v_mfma_f32_16x16x32_fp8_fp8 v[12:15], a[138:139], a[42:43], v[12:15]// 000000009C40: D3F3000C 1C32558A
	v_mfma_f32_16x16x32_fp8_fp8 v[12:15], a[140:141], a[44:45], v[12:15]// 000000009C48: D3F3000C 1C32598C
	v_mfma_f32_16x16x32_fp8_fp8 v[12:15], a[142:143], a[46:47], v[12:15]// 000000009C50: D3F3000C 1C325D8E
	v_fma_f32 v84, v8, v6, v84                                 // 000000009C58: D1CB0054 05520D08
	v_fma_f32 v85, v9, v6, v85                                 // 000000009C60: D1CB0055 05560D09
	v_fma_f32 v86, v10, v6, v86                                // 000000009C68: D1CB0056 055A0D0A
	v_fma_f32 v87, v11, v6, v87                                // 000000009C70: D1CB0057 055E0D0B
	v_fma_f32 v96, v12, v6, v96                                // 000000009C78: D1CB0060 05820D0C
	v_fma_f32 v97, v13, v6, v97                                // 000000009C80: D1CB0061 05860D0D
	v_fma_f32 v98, v14, v6, v98                                // 000000009C88: D1CB0062 058A0D0E
	v_fma_f32 v99, v15, v6, v99                                // 000000009C90: D1CB0063 058E0D0F
	s_waitcnt vmcnt(18)                                        // 000000009C98: BF8C4F72
	s_barrier                                                  // 000000009C9C: BF8A0000
	v_mul_f32_dpp v4, v28, v36 row_newbcast:0 row_mask:0xf bank_mask:0xf// 000000009CA0: 0A0848FA FF01501C
	v_mfma_f32_16x16x32_fp8_fp8 v[8:11], a[48:49], a[24:25], 0 // 000000009CA8: D3F30008 1A023130
	buffer_load_dword v29, v23, s[32:35], 0 offen              // 000000009CB0: E0501000 80081D17
	buffer_load_dwordx4 a[112:115], v48, s[84:87], 0 offen     // 000000009CB8: E05C1000 80957030
	v_mfma_f32_16x16x32_fp8_fp8 v[8:11], a[50:51], a[26:27], v[8:11]// 000000009CC0: D3F30008 1C223532
	v_mfma_f32_16x16x32_fp8_fp8 v[8:11], a[52:53], a[28:29], v[8:11]// 000000009CC8: D3F30008 1C223934
	ds_read_b128 a[0:3], v2 offset:12544                       // 000000009CD0: DBFE3100 00000002
	ds_read_b128 a[4:7], v2 offset:12608                       // 000000009CD8: DBFE3140 04000002
	v_mfma_f32_16x16x32_fp8_fp8 v[8:11], a[54:55], a[30:31], v[8:11]// 000000009CE0: D3F30008 1C223D36
	v_mfma_f32_16x16x32_fp8_fp8 v[12:15], a[56:57], a[24:25], 0// 000000009CE8: D3F3000C 1A023138
	buffer_load_dwordx4 a[116:119], v48, s[84:87], 0 offen offset:1024// 000000009CF0: E05C1400 80957430
	v_mfma_f32_16x16x32_fp8_fp8 v[12:15], a[58:59], a[26:27], v[12:15]// 000000009CF8: D3F3000C 1C32353A
	v_mfma_f32_16x16x32_fp8_fp8 v[12:15], a[60:61], a[28:29], v[12:15]// 000000009D00: D3F3000C 1C32393C
	ds_read_b128 a[8:11], v2 offset:13056                      // 000000009D08: DBFE3300 08000002
	ds_read_b128 a[12:15], v2 offset:13120                     // 000000009D10: DBFE3340 0C000002
	v_mfma_f32_16x16x32_fp8_fp8 v[12:15], a[62:63], a[30:31], v[12:15]// 000000009D18: D3F3000C 1C323D3E
	v_fma_f32 v100, v8, v4, v100                               // 000000009D20: D1CB0064 05920908
	v_fma_f32 v101, v9, v4, v101                               // 000000009D28: D1CB0065 05960909
	v_fma_f32 v102, v10, v4, v102                              // 000000009D30: D1CB0066 059A090A
	v_fma_f32 v103, v11, v4, v103                              // 000000009D38: D1CB0067 059E090B
	v_mul_f32_dpp v6, v28, v36 row_newbcast:1 row_mask:0xf bank_mask:0xf// 000000009D40: 0A0C48FA FF01511C
	v_mfma_f32_16x16x32_fp8_fp8 v[8:11], a[64:65], a[24:25], 0 // 000000009D48: D3F30008 1A023140
	buffer_load_dwordx4 a[120:123], v49, s[84:87], 0 offen     // 000000009D50: E05C1000 80957831
	v_mfma_f32_16x16x32_fp8_fp8 v[8:11], a[66:67], a[26:27], v[8:11]// 000000009D58: D3F30008 1C223542
	v_mfma_f32_16x16x32_fp8_fp8 v[8:11], a[68:69], a[28:29], v[8:11]// 000000009D60: D3F30008 1C223944
	ds_read_b128 a[16:19], v2 offset:13568                     // 000000009D68: DBFE3500 10000002
	ds_read_b128 a[20:23], v2 offset:13632                     // 000000009D70: DBFE3540 14000002
	v_mfma_f32_16x16x32_fp8_fp8 v[8:11], a[70:71], a[30:31], v[8:11]// 000000009D78: D3F30008 1C223D46
	v_fma_f32 v112, v12, v4, v112                              // 000000009D80: D1CB0070 05C2090C
	v_fma_f32 v113, v13, v4, v113                              // 000000009D88: D1CB0071 05C6090D
	v_fma_f32 v114, v14, v4, v114                              // 000000009D90: D1CB0072 05CA090E
	v_fma_f32 v115, v15, v4, v115                              // 000000009D98: D1CB0073 05CE090F
	v_mfma_f32_16x16x32_fp8_fp8 v[12:15], a[72:73], a[24:25], 0// 000000009DA0: D3F3000C 1A023148
	buffer_load_dwordx4 a[124:127], v49, s[84:87], 0 offen offset:1024// 000000009DA8: E05C1400 80957C31
	v_mfma_f32_16x16x32_fp8_fp8 v[12:15], a[74:75], a[26:27], v[12:15]// 000000009DB0: D3F3000C 1C32354A
	v_mfma_f32_16x16x32_fp8_fp8 v[12:15], a[76:77], a[28:29], v[12:15]// 000000009DB8: D3F3000C 1C32394C
	v_mfma_f32_16x16x32_fp8_fp8 v[12:15], a[78:79], a[30:31], v[12:15]// 000000009DC0: D3F3000C 1C323D4E
	v_fma_f32 v124, v8, v6, v124                               // 000000009DC8: D1CB007C 05F20D08
	v_fma_f32 v125, v9, v6, v125                               // 000000009DD0: D1CB007D 05F60D09
	v_fma_f32 v126, v10, v6, v126                              // 000000009DD8: D1CB007E 05FA0D0A
	v_fma_f32 v127, v11, v6, v127                              // 000000009DE0: D1CB007F 05FE0D0B
	v_mul_f32_dpp v4, v28, v37 row_newbcast:0 row_mask:0xf bank_mask:0xf// 000000009DE8: 0A084AFA FF01501C
	v_mfma_f32_16x16x32_fp8_fp8 v[8:11], a[48:49], a[32:33], 0 // 000000009DF0: D3F30008 1A024130
	buffer_load_dwordx4 a[128:131], v50, s[84:87], 0 offen     // 000000009DF8: E05C1000 80958032
	v_mfma_f32_16x16x32_fp8_fp8 v[8:11], a[50:51], a[34:35], v[8:11]// 000000009E00: D3F30008 1C224532
	v_mfma_f32_16x16x32_fp8_fp8 v[8:11], a[52:53], a[36:37], v[8:11]// 000000009E08: D3F30008 1C224934
	v_mfma_f32_16x16x32_fp8_fp8 v[8:11], a[54:55], a[38:39], v[8:11]// 000000009E10: D3F30008 1C224D36
	v_fma_f32 v136, v12, v6, v136                              // 000000009E18: D1CB0088 06220D0C
	v_fma_f32 v137, v13, v6, v137                              // 000000009E20: D1CB0089 06260D0D
	v_fma_f32 v138, v14, v6, v138                              // 000000009E28: D1CB008A 062A0D0E
	v_fma_f32 v139, v15, v6, v139                              // 000000009E30: D1CB008B 062E0D0F
	v_mfma_f32_16x16x32_fp8_fp8 v[12:15], a[56:57], a[32:33], 0// 000000009E38: D3F3000C 1A024138
	buffer_load_dwordx4 a[132:135], v50, s[84:87], 0 offen offset:1024// 000000009E40: E05C1400 80958432
	v_mfma_f32_16x16x32_fp8_fp8 v[12:15], a[58:59], a[34:35], v[12:15]// 000000009E48: D3F3000C 1C32453A
	v_mfma_f32_16x16x32_fp8_fp8 v[12:15], a[60:61], a[36:37], v[12:15]// 000000009E50: D3F3000C 1C32493C
	v_mfma_f32_16x16x32_fp8_fp8 v[12:15], a[62:63], a[38:39], v[12:15]// 000000009E58: D3F3000C 1C324D3E
	v_fma_f32 v104, v8, v4, v104                               // 000000009E60: D1CB0068 05A20908
	v_fma_f32 v105, v9, v4, v105                               // 000000009E68: D1CB0069 05A60909
	v_fma_f32 v106, v10, v4, v106                              // 000000009E70: D1CB006A 05AA090A
	v_fma_f32 v107, v11, v4, v107                              // 000000009E78: D1CB006B 05AE090B
	v_mul_f32_dpp v6, v28, v37 row_newbcast:1 row_mask:0xf bank_mask:0xf// 000000009E80: 0A0C4AFA FF01511C
	v_mfma_f32_16x16x32_fp8_fp8 v[8:11], a[64:65], a[32:33], 0 // 000000009E88: D3F30008 1A024140
	buffer_load_dwordx4 a[136:139], v51, s[84:87], 0 offen     // 000000009E90: E05C1000 80958833
	v_mfma_f32_16x16x32_fp8_fp8 v[8:11], a[66:67], a[34:35], v[8:11]// 000000009E98: D3F30008 1C224542
	v_mfma_f32_16x16x32_fp8_fp8 v[8:11], a[68:69], a[36:37], v[8:11]// 000000009EA0: D3F30008 1C224944
	v_mfma_f32_16x16x32_fp8_fp8 v[8:11], a[70:71], a[38:39], v[8:11]// 000000009EA8: D3F30008 1C224D46
	v_fma_f32 v116, v12, v4, v116                              // 000000009EB0: D1CB0074 05D2090C
	v_fma_f32 v117, v13, v4, v117                              // 000000009EB8: D1CB0075 05D6090D
	v_fma_f32 v118, v14, v4, v118                              // 000000009EC0: D1CB0076 05DA090E
	v_fma_f32 v119, v15, v4, v119                              // 000000009EC8: D1CB0077 05DE090F
	v_mfma_f32_16x16x32_fp8_fp8 v[12:15], a[72:73], a[32:33], 0// 000000009ED0: D3F3000C 1A024148
	buffer_load_dwordx4 a[140:143], v51, s[84:87], 0 offen offset:1024// 000000009ED8: E05C1400 80958C33
	v_mfma_f32_16x16x32_fp8_fp8 v[12:15], a[74:75], a[34:35], v[12:15]// 000000009EE0: D3F3000C 1C32454A
	v_mfma_f32_16x16x32_fp8_fp8 v[12:15], a[76:77], a[36:37], v[12:15]// 000000009EE8: D3F3000C 1C32494C
	v_mfma_f32_16x16x32_fp8_fp8 v[12:15], a[78:79], a[38:39], v[12:15]// 000000009EF0: D3F3000C 1C324D4E
	v_fma_f32 v128, v8, v6, v128                               // 000000009EF8: D1CB0080 06020D08
	v_fma_f32 v129, v9, v6, v129                               // 000000009F00: D1CB0081 06060D09
	v_fma_f32 v130, v10, v6, v130                              // 000000009F08: D1CB0082 060A0D0A
	v_fma_f32 v131, v11, v6, v131                              // 000000009F10: D1CB0083 060E0D0B
	v_mul_f32_dpp v4, v28, v38 row_newbcast:0 row_mask:0xf bank_mask:0xf// 000000009F18: 0A084CFA FF01501C
	v_mfma_f32_16x16x32_fp8_fp8 v[8:11], a[48:49], a[40:41], 0 // 000000009F20: D3F30008 1A025130
	v_mfma_f32_16x16x32_fp8_fp8 v[8:11], a[50:51], a[42:43], v[8:11]// 000000009F28: D3F30008 1C225532
	v_mfma_f32_16x16x32_fp8_fp8 v[8:11], a[52:53], a[44:45], v[8:11]// 000000009F30: D3F30008 1C225934
	v_mfma_f32_16x16x32_fp8_fp8 v[8:11], a[54:55], a[46:47], v[8:11]// 000000009F38: D3F30008 1C225D36
	v_fma_f32 v140, v12, v6, v140                              // 000000009F40: D1CB008C 06320D0C
	v_fma_f32 v141, v13, v6, v141                              // 000000009F48: D1CB008D 06360D0D
	v_fma_f32 v142, v14, v6, v142                              // 000000009F50: D1CB008E 063A0D0E
	v_fma_f32 v143, v15, v6, v143                              // 000000009F58: D1CB008F 063E0D0F
	v_mfma_f32_16x16x32_fp8_fp8 v[12:15], a[56:57], a[40:41], 0// 000000009F60: D3F3000C 1A025138
	v_mfma_f32_16x16x32_fp8_fp8 v[12:15], a[58:59], a[42:43], v[12:15]// 000000009F68: D3F3000C 1C32553A
	v_mfma_f32_16x16x32_fp8_fp8 v[12:15], a[60:61], a[44:45], v[12:15]// 000000009F70: D3F3000C 1C32593C
	v_mfma_f32_16x16x32_fp8_fp8 v[12:15], a[62:63], a[46:47], v[12:15]// 000000009F78: D3F3000C 1C325D3E
	v_fma_f32 v108, v8, v4, v108                               // 000000009F80: D1CB006C 05B20908
	v_fma_f32 v109, v9, v4, v109                               // 000000009F88: D1CB006D 05B60909
	v_fma_f32 v110, v10, v4, v110                              // 000000009F90: D1CB006E 05BA090A
	v_fma_f32 v111, v11, v4, v111                              // 000000009F98: D1CB006F 05BE090B
	v_mul_f32_dpp v6, v28, v38 row_newbcast:1 row_mask:0xf bank_mask:0xf// 000000009FA0: 0A0C4CFA FF01511C
	v_mfma_f32_16x16x32_fp8_fp8 v[8:11], a[64:65], a[40:41], 0 // 000000009FA8: D3F30008 1A025140
	s_add_u32 s60, 0x180, s80                                  // 000000009FB0: 803C50FF 00000180
	s_cmp_lt_u32 s60, s81                                      // 000000009FB8: BF0A513C
	s_cselect_b32 s57, s57, 0                                  // 000000009FBC: 85398039
	s_cselect_b32 s3, s3, 0                                    // 000000009FC0: 85038003
	v_mfma_f32_16x16x32_fp8_fp8 v[8:11], a[66:67], a[42:43], v[8:11]// 000000009FC4: D3F30008 1C225542
	s_add_u32 s60, 0x100, s80                                  // 000000009FCC: 803C50FF 00000100
	s_cmp_lt_u32 s60, s81                                      // 000000009FD4: BF0A513C
	s_cselect_b32 s58, s58, 0                                  // 000000009FD8: 853A803A
	v_mfma_f32_16x16x32_fp8_fp8 v[8:11], a[68:69], a[44:45], v[8:11]// 000000009FDC: D3F30008 1C225944
	s_add_u32 s60, 0x100, s80                                  // 000000009FE4: 803C50FF 00000100
	s_cmp_lt_u32 s60, s81                                      // 000000009FEC: BF0A513C
	s_cselect_b32 s83, s83, 0                                  // 000000009FF0: 85538053
	s_cselect_b32 s4, s4, 0                                    // 000000009FF4: 85048004
	v_mfma_f32_16x16x32_fp8_fp8 v[8:11], a[70:71], a[46:47], v[8:11]// 000000009FF8: D3F30008 1C225D46
	s_add_u32 s24, s58, s24                                    // 00000000A000: 8018183A
	s_addc_u32 s25, 0, s25                                     // 00000000A004: 82191980
	v_fma_f32 v120, v12, v4, v120                              // 00000000A008: D1CB0078 05E2090C
	v_fma_f32 v121, v13, v4, v121                              // 00000000A010: D1CB0079 05E6090D
	v_fma_f32 v122, v14, v4, v122                              // 00000000A018: D1CB007A 05EA090E
	v_fma_f32 v123, v15, v4, v123                              // 00000000A020: D1CB007B 05EE090F
	v_mfma_f32_16x16x32_fp8_fp8 v[12:15], a[72:73], a[40:41], 0// 00000000A028: D3F3000C 1A025148
	s_add_u32 s20, s57, s20                                    // 00000000A030: 80141439
	s_addc_u32 s21, 0, s21                                     // 00000000A034: 82151580
	s_add_u32 s28, s3, s28                                     // 00000000A038: 801C1C03
	s_addc_u32 s29, 0, s29                                     // 00000000A03C: 821D1D80
	v_mfma_f32_16x16x32_fp8_fp8 v[12:15], a[74:75], a[42:43], v[12:15]// 00000000A040: D3F3000C 1C32554A
	s_add_u32 s84, s83, s84                                    // 00000000A048: 80545453
	s_addc_u32 s85, 0, s85                                     // 00000000A04C: 82555580
	v_mfma_f32_16x16x32_fp8_fp8 v[12:15], a[76:77], a[44:45], v[12:15]// 00000000A050: D3F3000C 1C32594C
	s_add_u32 s32, s4, s32                                     // 00000000A058: 80202004
	s_addc_u32 s33, 0, s33                                     // 00000000A05C: 82212180
	v_mfma_f32_16x16x32_fp8_fp8 v[12:15], a[78:79], a[46:47], v[12:15]// 00000000A060: D3F3000C 1C325D4E
	v_fma_f32 v132, v8, v6, v132                               // 00000000A068: D1CB0084 06120D08
	v_fma_f32 v133, v9, v6, v133                               // 00000000A070: D1CB0085 06160D09
	v_fma_f32 v134, v10, v6, v134                              // 00000000A078: D1CB0086 061A0D0A
	v_fma_f32 v135, v11, v6, v135                              // 00000000A080: D1CB0087 061E0D0B
	v_fma_f32 v144, v12, v6, v144                              // 00000000A088: D1CB0090 06420D0C
	v_fma_f32 v145, v13, v6, v145                              // 00000000A090: D1CB0091 06460D0D
	v_fma_f32 v146, v14, v6, v146                              // 00000000A098: D1CB0092 064A0D0E
	v_fma_f32 v147, v15, v6, v147                              // 00000000A0A0: D1CB0093 064E0D0F
	s_addk_i32 s80, 0x80                                       // 00000000A0A8: B7500080
	s_cmp_lt_i32 s80, s81                                      // 00000000A0AC: BF045150
	s_cbranch_scc0 label_25BD                                  // 00000000A0B0: BF84080D
	s_waitcnt vmcnt(18) lgkmcnt(0)                             // 00000000A0B4: BF8C4072
	v_mul_f32_dpp v4, v26, v39 row_newbcast:0 row_mask:0xf bank_mask:0xf// 00000000A0B8: 0A084EFA FF01501A
	v_mfma_f32_16x16x32_fp8_fp8 v[8:11], a[80:81], a[0:1], 0   // 00000000A0C0: D3F30008 1A020150
	buffer_load_dword v24, v22, s[32:35], 0 offen              // 00000000A0C8: E0501000 80081816
	buffer_load_dwordx4 a[48:51], v48, s[24:27], 0 offen       // 00000000A0D0: E05C1000 80863030
	v_mfma_f32_16x16x32_fp8_fp8 v[8:11], a[82:83], a[2:3], v[8:11]// 00000000A0D8: D3F30008 1C220552
	v_mfma_f32_16x16x32_fp8_fp8 v[8:11], a[84:85], a[4:5], v[8:11]// 00000000A0E0: D3F30008 1C220954
	v_mfma_f32_16x16x32_fp8_fp8 v[8:11], a[86:87], a[6:7], v[8:11]// 00000000A0E8: D3F30008 1C220D56
	v_mfma_f32_16x16x32_fp8_fp8 v[12:15], a[88:89], a[0:1], 0  // 00000000A0F0: D3F3000C 1A020158
	buffer_load_dwordx4 a[52:55], v48, s[24:27], 0 offen offset:1024// 00000000A0F8: E05C1400 80863430
	v_mfma_f32_16x16x32_fp8_fp8 v[12:15], a[90:91], a[2:3], v[12:15]// 00000000A100: D3F3000C 1C32055A
	v_mfma_f32_16x16x32_fp8_fp8 v[12:15], a[92:93], a[4:5], v[12:15]// 00000000A108: D3F3000C 1C32095C
	v_mfma_f32_16x16x32_fp8_fp8 v[12:15], a[94:95], a[6:7], v[12:15]// 00000000A110: D3F3000C 1C320D5E
	v_fma_f32 v52, v8, v4, v52                                 // 00000000A118: D1CB0034 04D20908
	v_fma_f32 v53, v9, v4, v53                                 // 00000000A120: D1CB0035 04D60909
	v_fma_f32 v54, v10, v4, v54                                // 00000000A128: D1CB0036 04DA090A
	v_fma_f32 v55, v11, v4, v55                                // 00000000A130: D1CB0037 04DE090B
	v_mul_f32_dpp v6, v26, v39 row_newbcast:1 row_mask:0xf bank_mask:0xf// 00000000A138: 0A0C4EFA FF01511A
	v_mfma_f32_16x16x32_fp8_fp8 v[8:11], a[96:97], a[0:1], 0   // 00000000A140: D3F30008 1A020160
	buffer_load_dwordx4 a[56:59], v49, s[24:27], 0 offen       // 00000000A148: E05C1000 80863831
	v_mfma_f32_16x16x32_fp8_fp8 v[8:11], a[98:99], a[2:3], v[8:11]// 00000000A150: D3F30008 1C220562
	v_mfma_f32_16x16x32_fp8_fp8 v[8:11], a[100:101], a[4:5], v[8:11]// 00000000A158: D3F30008 1C220964
	v_mfma_f32_16x16x32_fp8_fp8 v[8:11], a[102:103], a[6:7], v[8:11]// 00000000A160: D3F30008 1C220D66
	v_fma_f32 v64, v12, v4, v64                                // 00000000A168: D1CB0040 0502090C
	v_fma_f32 v65, v13, v4, v65                                // 00000000A170: D1CB0041 0506090D
	v_fma_f32 v66, v14, v4, v66                                // 00000000A178: D1CB0042 050A090E
	v_fma_f32 v67, v15, v4, v67                                // 00000000A180: D1CB0043 050E090F
	v_mfma_f32_16x16x32_fp8_fp8 v[12:15], a[104:105], a[0:1], 0// 00000000A188: D3F3000C 1A020168
	buffer_load_dwordx4 a[60:63], v49, s[24:27], 0 offen offset:1024// 00000000A190: E05C1400 80863C31
	v_mfma_f32_16x16x32_fp8_fp8 v[12:15], a[106:107], a[2:3], v[12:15]// 00000000A198: D3F3000C 1C32056A
	v_mfma_f32_16x16x32_fp8_fp8 v[12:15], a[108:109], a[4:5], v[12:15]// 00000000A1A0: D3F3000C 1C32096C
	v_mfma_f32_16x16x32_fp8_fp8 v[12:15], a[110:111], a[6:7], v[12:15]// 00000000A1A8: D3F3000C 1C320D6E
	v_fma_f32 v76, v8, v6, v76                                 // 00000000A1B0: D1CB004C 05320D08
	v_fma_f32 v77, v9, v6, v77                                 // 00000000A1B8: D1CB004D 05360D09
	v_fma_f32 v78, v10, v6, v78                                // 00000000A1C0: D1CB004E 053A0D0A
	v_fma_f32 v79, v11, v6, v79                                // 00000000A1C8: D1CB004F 053E0D0B
	v_mul_f32_dpp v4, v26, v40 row_newbcast:0 row_mask:0xf bank_mask:0xf// 00000000A1D0: 0A0850FA FF01501A
	v_mfma_f32_16x16x32_fp8_fp8 v[8:11], a[80:81], a[8:9], 0   // 00000000A1D8: D3F30008 1A021150
	buffer_load_dwordx4 a[64:67], v50, s[24:27], 0 offen       // 00000000A1E0: E05C1000 80864032
	v_mfma_f32_16x16x32_fp8_fp8 v[8:11], a[82:83], a[10:11], v[8:11]// 00000000A1E8: D3F30008 1C221552
	v_mfma_f32_16x16x32_fp8_fp8 v[8:11], a[84:85], a[12:13], v[8:11]// 00000000A1F0: D3F30008 1C221954
	v_mfma_f32_16x16x32_fp8_fp8 v[8:11], a[86:87], a[14:15], v[8:11]// 00000000A1F8: D3F30008 1C221D56
	v_fma_f32 v88, v12, v6, v88                                // 00000000A200: D1CB0058 05620D0C
	v_fma_f32 v89, v13, v6, v89                                // 00000000A208: D1CB0059 05660D0D
	v_fma_f32 v90, v14, v6, v90                                // 00000000A210: D1CB005A 056A0D0E
	v_fma_f32 v91, v15, v6, v91                                // 00000000A218: D1CB005B 056E0D0F
	v_mfma_f32_16x16x32_fp8_fp8 v[12:15], a[88:89], a[8:9], 0  // 00000000A220: D3F3000C 1A021158
	buffer_load_dwordx4 a[68:71], v50, s[24:27], 0 offen offset:1024// 00000000A228: E05C1400 80864432
	v_mfma_f32_16x16x32_fp8_fp8 v[12:15], a[90:91], a[10:11], v[12:15]// 00000000A230: D3F3000C 1C32155A
	v_mfma_f32_16x16x32_fp8_fp8 v[12:15], a[92:93], a[12:13], v[12:15]// 00000000A238: D3F3000C 1C32195C
	v_mfma_f32_16x16x32_fp8_fp8 v[12:15], a[94:95], a[14:15], v[12:15]// 00000000A240: D3F3000C 1C321D5E
	v_fma_f32 v56, v8, v4, v56                                 // 00000000A248: D1CB0038 04E20908
	v_fma_f32 v57, v9, v4, v57                                 // 00000000A250: D1CB0039 04E60909
	v_fma_f32 v58, v10, v4, v58                                // 00000000A258: D1CB003A 04EA090A
	v_fma_f32 v59, v11, v4, v59                                // 00000000A260: D1CB003B 04EE090B
	v_mul_f32_dpp v6, v26, v40 row_newbcast:1 row_mask:0xf bank_mask:0xf// 00000000A268: 0A0C50FA FF01511A
	v_mfma_f32_16x16x32_fp8_fp8 v[8:11], a[96:97], a[8:9], 0   // 00000000A270: D3F30008 1A021160
	buffer_load_dwordx4 a[72:75], v51, s[24:27], 0 offen       // 00000000A278: E05C1000 80864833
	v_mfma_f32_16x16x32_fp8_fp8 v[8:11], a[98:99], a[10:11], v[8:11]// 00000000A280: D3F30008 1C221562
	v_mfma_f32_16x16x32_fp8_fp8 v[8:11], a[100:101], a[12:13], v[8:11]// 00000000A288: D3F30008 1C221964
	v_mfma_f32_16x16x32_fp8_fp8 v[8:11], a[102:103], a[14:15], v[8:11]// 00000000A290: D3F30008 1C221D66
	v_fma_f32 v68, v12, v4, v68                                // 00000000A298: D1CB0044 0512090C
	v_fma_f32 v69, v13, v4, v69                                // 00000000A2A0: D1CB0045 0516090D
	v_fma_f32 v70, v14, v4, v70                                // 00000000A2A8: D1CB0046 051A090E
	v_fma_f32 v71, v15, v4, v71                                // 00000000A2B0: D1CB0047 051E090F
	v_mfma_f32_16x16x32_fp8_fp8 v[12:15], a[104:105], a[8:9], 0// 00000000A2B8: D3F3000C 1A021168
	buffer_load_dwordx4 a[76:79], v51, s[24:27], 0 offen offset:1024// 00000000A2C0: E05C1400 80864C33
	buffer_load_dword v42, s[20:23], 0 offen lds               // 00000000A2C8: E0511000 8005002A
	s_add_u32 m0, 0x100, s49                                   // 00000000A2D0: 807C31FF 00000100
	v_mfma_f32_16x16x32_fp8_fp8 v[12:15], a[106:107], a[10:11], v[12:15]// 00000000A2D8: D3F3000C 1C32156A
	v_mfma_f32_16x16x32_fp8_fp8 v[12:15], a[108:109], a[12:13], v[12:15]// 00000000A2E0: D3F3000C 1C32196C
	buffer_load_dword v43, s[20:23], 0 offen lds               // 00000000A2E8: E0511000 8005002B
	s_add_u32 m0, 0x200, s49                                   // 00000000A2F0: 807C31FF 00000200
	v_mfma_f32_16x16x32_fp8_fp8 v[12:15], a[110:111], a[14:15], v[12:15]// 00000000A2F8: D3F3000C 1C321D6E
	v_fma_f32 v80, v8, v6, v80                                 // 00000000A300: D1CB0050 05420D08
	v_fma_f32 v81, v9, v6, v81                                 // 00000000A308: D1CB0051 05460D09
	v_fma_f32 v82, v10, v6, v82                                // 00000000A310: D1CB0052 054A0D0A
	v_fma_f32 v83, v11, v6, v83                                // 00000000A318: D1CB0053 054E0D0B
	v_mul_f32_dpp v4, v26, v41 row_newbcast:0 row_mask:0xf bank_mask:0xf// 00000000A320: 0A0852FA FF01501A
	v_mfma_f32_16x16x32_fp8_fp8 v[8:11], a[80:81], a[16:17], 0 // 00000000A328: D3F30008 1A022150
	buffer_load_dword v44, s[20:23], 0 offen lds               // 00000000A330: E0511000 8005002C
	s_add_u32 m0, 0x300, s49                                   // 00000000A338: 807C31FF 00000300
	v_mfma_f32_16x16x32_fp8_fp8 v[8:11], a[82:83], a[18:19], v[8:11]// 00000000A340: D3F30008 1C222552
	v_mfma_f32_16x16x32_fp8_fp8 v[8:11], a[84:85], a[20:21], v[8:11]// 00000000A348: D3F30008 1C222954
	buffer_load_dword v45, s[20:23], 0 offen lds               // 00000000A350: E0511000 8005002D
	s_add_u32 m0, 0x400, s49                                   // 00000000A358: 807C31FF 00000400
	v_mfma_f32_16x16x32_fp8_fp8 v[8:11], a[86:87], a[22:23], v[8:11]// 00000000A360: D3F30008 1C222D56
	v_fma_f32 v92, v12, v6, v92                                // 00000000A368: D1CB005C 05720D0C
	v_fma_f32 v93, v13, v6, v93                                // 00000000A370: D1CB005D 05760D0D
	v_fma_f32 v94, v14, v6, v94                                // 00000000A378: D1CB005E 057A0D0E
	v_fma_f32 v95, v15, v6, v95                                // 00000000A380: D1CB005F 057E0D0F
	v_mfma_f32_16x16x32_fp8_fp8 v[12:15], a[88:89], a[16:17], 0// 00000000A388: D3F3000C 1A022158
	buffer_load_dword v46, s[20:23], 0 offen lds               // 00000000A390: E0511000 8005002E
	s_add_u32 m0, 0x500, s49                                   // 00000000A398: 807C31FF 00000500
	v_mfma_f32_16x16x32_fp8_fp8 v[12:15], a[90:91], a[18:19], v[12:15]// 00000000A3A0: D3F3000C 1C32255A
	v_mfma_f32_16x16x32_fp8_fp8 v[12:15], a[92:93], a[20:21], v[12:15]// 00000000A3A8: D3F3000C 1C32295C
	buffer_load_dword v47, s[20:23], 0 offen lds               // 00000000A3B0: E0511000 8005002F
	s_add_u32 m0, 0, s50                                       // 00000000A3B8: 807C3280
	v_mfma_f32_16x16x32_fp8_fp8 v[12:15], a[94:95], a[22:23], v[12:15]// 00000000A3BC: D3F3000C 1C322D5E
	v_fma_f32 v60, v8, v4, v60                                 // 00000000A3C4: D1CB003C 04F20908
	v_fma_f32 v61, v9, v4, v61                                 // 00000000A3CC: D1CB003D 04F60909
	v_fma_f32 v62, v10, v4, v62                                // 00000000A3D4: D1CB003E 04FA090A
	v_fma_f32 v63, v11, v4, v63                                // 00000000A3DC: D1CB003F 04FE090B
	v_mul_f32_dpp v6, v26, v41 row_newbcast:1 row_mask:0xf bank_mask:0xf// 00000000A3E4: 0A0C52FA FF01511A
	v_mfma_f32_16x16x32_fp8_fp8 v[8:11], a[96:97], a[16:17], 0 // 00000000A3EC: D3F30008 1A022160
	buffer_load_dword v36, v30, s[28:31], 0 offen              // 00000000A3F4: E0501000 8007241E
	v_mfma_f32_16x16x32_fp8_fp8 v[8:11], a[98:99], a[18:19], v[8:11]// 00000000A3FC: D3F30008 1C222562
	v_mfma_f32_16x16x32_fp8_fp8 v[8:11], a[100:101], a[20:21], v[8:11]// 00000000A404: D3F30008 1C222964
	buffer_load_dword v37, v31, s[28:31], 0 offen              // 00000000A40C: E0501000 8007251F
	v_mfma_f32_16x16x32_fp8_fp8 v[8:11], a[102:103], a[22:23], v[8:11]// 00000000A414: D3F30008 1C222D66
	v_fma_f32 v72, v12, v4, v72                                // 00000000A41C: D1CB0048 0522090C
	v_fma_f32 v73, v13, v4, v73                                // 00000000A424: D1CB0049 0526090D
	v_fma_f32 v74, v14, v4, v74                                // 00000000A42C: D1CB004A 052A090E
	v_fma_f32 v75, v15, v4, v75                                // 00000000A434: D1CB004B 052E090F
	v_mfma_f32_16x16x32_fp8_fp8 v[12:15], a[104:105], a[16:17], 0// 00000000A43C: D3F3000C 1A022168
	buffer_load_dword v38, v32, s[28:31], 0 offen              // 00000000A444: E0501000 80072620
	v_mfma_f32_16x16x32_fp8_fp8 v[12:15], a[106:107], a[18:19], v[12:15]// 00000000A44C: D3F3000C 1C32256A
	v_mfma_f32_16x16x32_fp8_fp8 v[12:15], a[108:109], a[20:21], v[12:15]// 00000000A454: D3F3000C 1C32296C
	v_mfma_f32_16x16x32_fp8_fp8 v[12:15], a[110:111], a[22:23], v[12:15]// 00000000A45C: D3F3000C 1C322D6E
	v_fma_f32 v84, v8, v6, v84                                 // 00000000A464: D1CB0054 05520D08
	v_fma_f32 v85, v9, v6, v85                                 // 00000000A46C: D1CB0055 05560D09
	v_fma_f32 v86, v10, v6, v86                                // 00000000A474: D1CB0056 055A0D0A
	v_fma_f32 v87, v11, v6, v87                                // 00000000A47C: D1CB0057 055E0D0B
	v_fma_f32 v96, v12, v6, v96                                // 00000000A484: D1CB0060 05820D0C
	v_fma_f32 v97, v13, v6, v97                                // 00000000A48C: D1CB0061 05860D0D
	v_fma_f32 v98, v14, v6, v98                                // 00000000A494: D1CB0062 058A0D0E
	v_fma_f32 v99, v15, v6, v99                                // 00000000A49C: D1CB0063 058E0D0F
	s_waitcnt vmcnt(18)                                        // 00000000A4A4: BF8C4F72
	s_barrier                                                  // 00000000A4A8: BF8A0000
	v_mul_f32_dpp v4, v29, v39 row_newbcast:0 row_mask:0xf bank_mask:0xf// 00000000A4AC: 0A084EFA FF01501D
	v_mfma_f32_16x16x32_fp8_fp8 v[8:11], a[112:113], a[0:1], 0 // 00000000A4B4: D3F30008 1A020170
	buffer_load_dword v27, v23, s[32:35], 0 offen              // 00000000A4BC: E0501000 80081B17
	buffer_load_dwordx4 a[80:83], v48, s[84:87], 0 offen       // 00000000A4C4: E05C1000 80955030
	v_mfma_f32_16x16x32_fp8_fp8 v[8:11], a[114:115], a[2:3], v[8:11]// 00000000A4CC: D3F30008 1C220572
	v_mfma_f32_16x16x32_fp8_fp8 v[8:11], a[116:117], a[4:5], v[8:11]// 00000000A4D4: D3F30008 1C220974
	ds_read_b128 a[24:27], v2                                  // 00000000A4DC: DBFE0000 18000002
	ds_read_b128 a[28:31], v2 offset:64                        // 00000000A4E4: DBFE0040 1C000002
	v_mfma_f32_16x16x32_fp8_fp8 v[8:11], a[118:119], a[6:7], v[8:11]// 00000000A4EC: D3F30008 1C220D76
	v_mfma_f32_16x16x32_fp8_fp8 v[12:15], a[120:121], a[0:1], 0// 00000000A4F4: D3F3000C 1A020178
	buffer_load_dwordx4 a[84:87], v48, s[84:87], 0 offen offset:1024// 00000000A4FC: E05C1400 80955430
	v_mfma_f32_16x16x32_fp8_fp8 v[12:15], a[122:123], a[2:3], v[12:15]// 00000000A504: D3F3000C 1C32057A
	v_mfma_f32_16x16x32_fp8_fp8 v[12:15], a[124:125], a[4:5], v[12:15]// 00000000A50C: D3F3000C 1C32097C
	ds_read_b128 a[32:35], v2 offset:512                       // 00000000A514: DBFE0200 20000002
	ds_read_b128 a[36:39], v2 offset:576                       // 00000000A51C: DBFE0240 24000002
	v_mfma_f32_16x16x32_fp8_fp8 v[12:15], a[126:127], a[6:7], v[12:15]// 00000000A524: D3F3000C 1C320D7E
	v_fma_f32 v100, v8, v4, v100                               // 00000000A52C: D1CB0064 05920908
	v_fma_f32 v101, v9, v4, v101                               // 00000000A534: D1CB0065 05960909
	v_fma_f32 v102, v10, v4, v102                              // 00000000A53C: D1CB0066 059A090A
	v_fma_f32 v103, v11, v4, v103                              // 00000000A544: D1CB0067 059E090B
	v_mul_f32_dpp v6, v29, v39 row_newbcast:1 row_mask:0xf bank_mask:0xf// 00000000A54C: 0A0C4EFA FF01511D
	v_mfma_f32_16x16x32_fp8_fp8 v[8:11], a[128:129], a[0:1], 0 // 00000000A554: D3F30008 1A020180
	buffer_load_dwordx4 a[88:91], v49, s[84:87], 0 offen       // 00000000A55C: E05C1000 80955831
	v_mfma_f32_16x16x32_fp8_fp8 v[8:11], a[130:131], a[2:3], v[8:11]// 00000000A564: D3F30008 1C220582
	v_mfma_f32_16x16x32_fp8_fp8 v[8:11], a[132:133], a[4:5], v[8:11]// 00000000A56C: D3F30008 1C220984
	ds_read_b128 a[40:43], v2 offset:1024                      // 00000000A574: DBFE0400 28000002
	ds_read_b128 a[44:47], v2 offset:1088                      // 00000000A57C: DBFE0440 2C000002
	v_mfma_f32_16x16x32_fp8_fp8 v[8:11], a[134:135], a[6:7], v[8:11]// 00000000A584: D3F30008 1C220D86
	v_fma_f32 v112, v12, v4, v112                              // 00000000A58C: D1CB0070 05C2090C
	v_fma_f32 v113, v13, v4, v113                              // 00000000A594: D1CB0071 05C6090D
	v_fma_f32 v114, v14, v4, v114                              // 00000000A59C: D1CB0072 05CA090E
	v_fma_f32 v115, v15, v4, v115                              // 00000000A5A4: D1CB0073 05CE090F
	v_mfma_f32_16x16x32_fp8_fp8 v[12:15], a[136:137], a[0:1], 0// 00000000A5AC: D3F3000C 1A020188
	buffer_load_dwordx4 a[92:95], v49, s[84:87], 0 offen offset:1024// 00000000A5B4: E05C1400 80955C31
	v_mfma_f32_16x16x32_fp8_fp8 v[12:15], a[138:139], a[2:3], v[12:15]// 00000000A5BC: D3F3000C 1C32058A
	v_mfma_f32_16x16x32_fp8_fp8 v[12:15], a[140:141], a[4:5], v[12:15]// 00000000A5C4: D3F3000C 1C32098C
	v_mfma_f32_16x16x32_fp8_fp8 v[12:15], a[142:143], a[6:7], v[12:15]// 00000000A5CC: D3F3000C 1C320D8E
	v_fma_f32 v124, v8, v6, v124                               // 00000000A5D4: D1CB007C 05F20D08
	v_fma_f32 v125, v9, v6, v125                               // 00000000A5DC: D1CB007D 05F60D09
	v_fma_f32 v126, v10, v6, v126                              // 00000000A5E4: D1CB007E 05FA0D0A
	v_fma_f32 v127, v11, v6, v127                              // 00000000A5EC: D1CB007F 05FE0D0B
	v_mul_f32_dpp v4, v29, v40 row_newbcast:0 row_mask:0xf bank_mask:0xf// 00000000A5F4: 0A0850FA FF01501D
	v_mfma_f32_16x16x32_fp8_fp8 v[8:11], a[112:113], a[8:9], 0 // 00000000A5FC: D3F30008 1A021170
	buffer_load_dwordx4 a[96:99], v50, s[84:87], 0 offen       // 00000000A604: E05C1000 80956032
	v_mfma_f32_16x16x32_fp8_fp8 v[8:11], a[114:115], a[10:11], v[8:11]// 00000000A60C: D3F30008 1C221572
	v_mfma_f32_16x16x32_fp8_fp8 v[8:11], a[116:117], a[12:13], v[8:11]// 00000000A614: D3F30008 1C221974
	v_mfma_f32_16x16x32_fp8_fp8 v[8:11], a[118:119], a[14:15], v[8:11]// 00000000A61C: D3F30008 1C221D76
	v_fma_f32 v136, v12, v6, v136                              // 00000000A624: D1CB0088 06220D0C
	v_fma_f32 v137, v13, v6, v137                              // 00000000A62C: D1CB0089 06260D0D
	v_fma_f32 v138, v14, v6, v138                              // 00000000A634: D1CB008A 062A0D0E
	v_fma_f32 v139, v15, v6, v139                              // 00000000A63C: D1CB008B 062E0D0F
	v_mfma_f32_16x16x32_fp8_fp8 v[12:15], a[120:121], a[8:9], 0// 00000000A644: D3F3000C 1A021178
	buffer_load_dwordx4 a[100:103], v50, s[84:87], 0 offen offset:1024// 00000000A64C: E05C1400 80956432
	v_mfma_f32_16x16x32_fp8_fp8 v[12:15], a[122:123], a[10:11], v[12:15]// 00000000A654: D3F3000C 1C32157A
	v_mfma_f32_16x16x32_fp8_fp8 v[12:15], a[124:125], a[12:13], v[12:15]// 00000000A65C: D3F3000C 1C32197C
	v_mfma_f32_16x16x32_fp8_fp8 v[12:15], a[126:127], a[14:15], v[12:15]// 00000000A664: D3F3000C 1C321D7E
	v_fma_f32 v104, v8, v4, v104                               // 00000000A66C: D1CB0068 05A20908
	v_fma_f32 v105, v9, v4, v105                               // 00000000A674: D1CB0069 05A60909
	v_fma_f32 v106, v10, v4, v106                              // 00000000A67C: D1CB006A 05AA090A
	v_fma_f32 v107, v11, v4, v107                              // 00000000A684: D1CB006B 05AE090B
	v_mul_f32_dpp v6, v29, v40 row_newbcast:1 row_mask:0xf bank_mask:0xf// 00000000A68C: 0A0C50FA FF01511D
	v_mfma_f32_16x16x32_fp8_fp8 v[8:11], a[128:129], a[8:9], 0 // 00000000A694: D3F30008 1A021180
	buffer_load_dwordx4 a[104:107], v51, s[84:87], 0 offen     // 00000000A69C: E05C1000 80956833
	v_mfma_f32_16x16x32_fp8_fp8 v[8:11], a[130:131], a[10:11], v[8:11]// 00000000A6A4: D3F30008 1C221582
	v_mfma_f32_16x16x32_fp8_fp8 v[8:11], a[132:133], a[12:13], v[8:11]// 00000000A6AC: D3F30008 1C221984
	v_mfma_f32_16x16x32_fp8_fp8 v[8:11], a[134:135], a[14:15], v[8:11]// 00000000A6B4: D3F30008 1C221D86
	v_fma_f32 v116, v12, v4, v116                              // 00000000A6BC: D1CB0074 05D2090C
	v_fma_f32 v117, v13, v4, v117                              // 00000000A6C4: D1CB0075 05D6090D
	v_fma_f32 v118, v14, v4, v118                              // 00000000A6CC: D1CB0076 05DA090E
	v_fma_f32 v119, v15, v4, v119                              // 00000000A6D4: D1CB0077 05DE090F
	v_mfma_f32_16x16x32_fp8_fp8 v[12:15], a[136:137], a[8:9], 0// 00000000A6DC: D3F3000C 1A021188
	buffer_load_dwordx4 a[108:111], v51, s[84:87], 0 offen offset:1024// 00000000A6E4: E05C1400 80956C33
	v_mfma_f32_16x16x32_fp8_fp8 v[12:15], a[138:139], a[10:11], v[12:15]// 00000000A6EC: D3F3000C 1C32158A
	v_mfma_f32_16x16x32_fp8_fp8 v[12:15], a[140:141], a[12:13], v[12:15]// 00000000A6F4: D3F3000C 1C32198C
	v_mfma_f32_16x16x32_fp8_fp8 v[12:15], a[142:143], a[14:15], v[12:15]// 00000000A6FC: D3F3000C 1C321D8E
	v_fma_f32 v128, v8, v6, v128                               // 00000000A704: D1CB0080 06020D08
	v_fma_f32 v129, v9, v6, v129                               // 00000000A70C: D1CB0081 06060D09
	v_fma_f32 v130, v10, v6, v130                              // 00000000A714: D1CB0082 060A0D0A
	v_fma_f32 v131, v11, v6, v131                              // 00000000A71C: D1CB0083 060E0D0B
	v_mul_f32_dpp v4, v29, v41 row_newbcast:0 row_mask:0xf bank_mask:0xf// 00000000A724: 0A0852FA FF01501D
	v_mfma_f32_16x16x32_fp8_fp8 v[8:11], a[112:113], a[16:17], 0// 00000000A72C: D3F30008 1A022170
	v_mfma_f32_16x16x32_fp8_fp8 v[8:11], a[114:115], a[18:19], v[8:11]// 00000000A734: D3F30008 1C222572
	v_mfma_f32_16x16x32_fp8_fp8 v[8:11], a[116:117], a[20:21], v[8:11]// 00000000A73C: D3F30008 1C222974
	v_mfma_f32_16x16x32_fp8_fp8 v[8:11], a[118:119], a[22:23], v[8:11]// 00000000A744: D3F30008 1C222D76
	v_fma_f32 v140, v12, v6, v140                              // 00000000A74C: D1CB008C 06320D0C
	v_fma_f32 v141, v13, v6, v141                              // 00000000A754: D1CB008D 06360D0D
	v_fma_f32 v142, v14, v6, v142                              // 00000000A75C: D1CB008E 063A0D0E
	v_fma_f32 v143, v15, v6, v143                              // 00000000A764: D1CB008F 063E0D0F
	v_mfma_f32_16x16x32_fp8_fp8 v[12:15], a[120:121], a[16:17], 0// 00000000A76C: D3F3000C 1A022178
	v_mfma_f32_16x16x32_fp8_fp8 v[12:15], a[122:123], a[18:19], v[12:15]// 00000000A774: D3F3000C 1C32257A
	v_mfma_f32_16x16x32_fp8_fp8 v[12:15], a[124:125], a[20:21], v[12:15]// 00000000A77C: D3F3000C 1C32297C
	v_mfma_f32_16x16x32_fp8_fp8 v[12:15], a[126:127], a[22:23], v[12:15]// 00000000A784: D3F3000C 1C322D7E
	v_fma_f32 v108, v8, v4, v108                               // 00000000A78C: D1CB006C 05B20908
	v_fma_f32 v109, v9, v4, v109                               // 00000000A794: D1CB006D 05B60909
	v_fma_f32 v110, v10, v4, v110                              // 00000000A79C: D1CB006E 05BA090A
	v_fma_f32 v111, v11, v4, v111                              // 00000000A7A4: D1CB006F 05BE090B
	v_mul_f32_dpp v6, v29, v41 row_newbcast:1 row_mask:0xf bank_mask:0xf// 00000000A7AC: 0A0C52FA FF01511D
	v_mfma_f32_16x16x32_fp8_fp8 v[8:11], a[128:129], a[16:17], 0// 00000000A7B4: D3F30008 1A022180
	s_add_u32 s60, 0x180, s80                                  // 00000000A7BC: 803C50FF 00000180
	s_cmp_lt_u32 s60, s81                                      // 00000000A7C4: BF0A513C
	s_cselect_b32 s57, s57, 0                                  // 00000000A7C8: 85398039
	s_cselect_b32 s3, s3, 0                                    // 00000000A7CC: 85038003
	v_mfma_f32_16x16x32_fp8_fp8 v[8:11], a[130:131], a[18:19], v[8:11]// 00000000A7D0: D3F30008 1C222582
	s_add_u32 s60, 0x100, s80                                  // 00000000A7D8: 803C50FF 00000100
	s_cmp_lt_u32 s60, s81                                      // 00000000A7E0: BF0A513C
	s_cselect_b32 s58, s58, 0                                  // 00000000A7E4: 853A803A
	v_mfma_f32_16x16x32_fp8_fp8 v[8:11], a[132:133], a[20:21], v[8:11]// 00000000A7E8: D3F30008 1C222984
	s_add_u32 s60, 0x100, s80                                  // 00000000A7F0: 803C50FF 00000100
	s_cmp_lt_u32 s60, s81                                      // 00000000A7F8: BF0A513C
	s_cselect_b32 s83, s83, 0                                  // 00000000A7FC: 85538053
	s_cselect_b32 s4, s4, 0                                    // 00000000A800: 85048004
	v_mfma_f32_16x16x32_fp8_fp8 v[8:11], a[134:135], a[22:23], v[8:11]// 00000000A804: D3F30008 1C222D86
	s_add_u32 s24, s58, s24                                    // 00000000A80C: 8018183A
	s_addc_u32 s25, 0, s25                                     // 00000000A810: 82191980
	v_fma_f32 v120, v12, v4, v120                              // 00000000A814: D1CB0078 05E2090C
	v_fma_f32 v121, v13, v4, v121                              // 00000000A81C: D1CB0079 05E6090D
	v_fma_f32 v122, v14, v4, v122                              // 00000000A824: D1CB007A 05EA090E
	v_fma_f32 v123, v15, v4, v123                              // 00000000A82C: D1CB007B 05EE090F
	v_mfma_f32_16x16x32_fp8_fp8 v[12:15], a[136:137], a[16:17], 0// 00000000A834: D3F3000C 1A022188
	s_add_u32 s20, s57, s20                                    // 00000000A83C: 80141439
	s_addc_u32 s21, 0, s21                                     // 00000000A840: 82151580
	s_add_u32 s28, s3, s28                                     // 00000000A844: 801C1C03
	s_addc_u32 s29, 0, s29                                     // 00000000A848: 821D1D80
	v_mfma_f32_16x16x32_fp8_fp8 v[12:15], a[138:139], a[18:19], v[12:15]// 00000000A84C: D3F3000C 1C32258A
	s_add_u32 s84, s83, s84                                    // 00000000A854: 80545453
	s_addc_u32 s85, 0, s85                                     // 00000000A858: 82555580
	v_mfma_f32_16x16x32_fp8_fp8 v[12:15], a[140:141], a[20:21], v[12:15]// 00000000A85C: D3F3000C 1C32298C
	s_add_u32 s32, s4, s32                                     // 00000000A864: 80202004
	s_addc_u32 s33, 0, s33                                     // 00000000A868: 82212180
	v_mfma_f32_16x16x32_fp8_fp8 v[12:15], a[142:143], a[22:23], v[12:15]// 00000000A86C: D3F3000C 1C322D8E
	v_fma_f32 v132, v8, v6, v132                               // 00000000A874: D1CB0084 06120D08
	v_fma_f32 v133, v9, v6, v133                               // 00000000A87C: D1CB0085 06160D09
	v_fma_f32 v134, v10, v6, v134                              // 00000000A884: D1CB0086 061A0D0A
	v_fma_f32 v135, v11, v6, v135                              // 00000000A88C: D1CB0087 061E0D0B
	v_fma_f32 v144, v12, v6, v144                              // 00000000A894: D1CB0090 06420D0C
	v_fma_f32 v145, v13, v6, v145                              // 00000000A89C: D1CB0091 06460D0D
	v_fma_f32 v146, v14, v6, v146                              // 00000000A8A4: D1CB0092 064A0D0E
	v_fma_f32 v147, v15, v6, v147                              // 00000000A8AC: D1CB0093 064E0D0F
	s_addk_i32 s80, 0x80                                       // 00000000A8B4: B7500080
	s_cmp_lt_i32 s80, s81                                      // 00000000A8B8: BF045150
	s_cbranch_scc0 label_25BD                                  // 00000000A8BC: BF84060A
	s_waitcnt vmcnt(18) lgkmcnt(0)                             // 00000000A8C0: BF8C4072
	v_mul_f32_dpp v4, v24, v33 row_newbcast:0 row_mask:0xf bank_mask:0xf// 00000000A8C4: 0A0842FA FF015018
	v_mfma_f32_16x16x32_fp8_fp8 v[8:11], a[48:49], a[24:25], 0 // 00000000A8CC: D3F30008 1A023130
	buffer_load_dword v25, v22, s[32:35], 0 offen              // 00000000A8D4: E0501000 80081916
	buffer_load_dwordx4 a[112:115], v48, s[24:27], 0 offen     // 00000000A8DC: E05C1000 80867030
	v_mfma_f32_16x16x32_fp8_fp8 v[8:11], a[50:51], a[26:27], v[8:11]// 00000000A8E4: D3F30008 1C223532
	v_mfma_f32_16x16x32_fp8_fp8 v[8:11], a[52:53], a[28:29], v[8:11]// 00000000A8EC: D3F30008 1C223934
	v_mfma_f32_16x16x32_fp8_fp8 v[8:11], a[54:55], a[30:31], v[8:11]// 00000000A8F4: D3F30008 1C223D36
	v_mfma_f32_16x16x32_fp8_fp8 v[12:15], a[56:57], a[24:25], 0// 00000000A8FC: D3F3000C 1A023138
	buffer_load_dwordx4 a[116:119], v48, s[24:27], 0 offen offset:1024// 00000000A904: E05C1400 80867430
	v_mfma_f32_16x16x32_fp8_fp8 v[12:15], a[58:59], a[26:27], v[12:15]// 00000000A90C: D3F3000C 1C32353A
	v_mfma_f32_16x16x32_fp8_fp8 v[12:15], a[60:61], a[28:29], v[12:15]// 00000000A914: D3F3000C 1C32393C
	v_mfma_f32_16x16x32_fp8_fp8 v[12:15], a[62:63], a[30:31], v[12:15]// 00000000A91C: D3F3000C 1C323D3E
	v_fma_f32 v52, v8, v4, v52                                 // 00000000A924: D1CB0034 04D20908
	v_fma_f32 v53, v9, v4, v53                                 // 00000000A92C: D1CB0035 04D60909
	v_fma_f32 v54, v10, v4, v54                                // 00000000A934: D1CB0036 04DA090A
	v_fma_f32 v55, v11, v4, v55                                // 00000000A93C: D1CB0037 04DE090B
	v_mul_f32_dpp v6, v24, v33 row_newbcast:1 row_mask:0xf bank_mask:0xf// 00000000A944: 0A0C42FA FF015118
	v_mfma_f32_16x16x32_fp8_fp8 v[8:11], a[64:65], a[24:25], 0 // 00000000A94C: D3F30008 1A023140
	buffer_load_dwordx4 a[120:123], v49, s[24:27], 0 offen     // 00000000A954: E05C1000 80867831
	v_mfma_f32_16x16x32_fp8_fp8 v[8:11], a[66:67], a[26:27], v[8:11]// 00000000A95C: D3F30008 1C223542
	v_mfma_f32_16x16x32_fp8_fp8 v[8:11], a[68:69], a[28:29], v[8:11]// 00000000A964: D3F30008 1C223944
	v_mfma_f32_16x16x32_fp8_fp8 v[8:11], a[70:71], a[30:31], v[8:11]// 00000000A96C: D3F30008 1C223D46
	v_fma_f32 v64, v12, v4, v64                                // 00000000A974: D1CB0040 0502090C
	v_fma_f32 v65, v13, v4, v65                                // 00000000A97C: D1CB0041 0506090D
	v_fma_f32 v66, v14, v4, v66                                // 00000000A984: D1CB0042 050A090E
	v_fma_f32 v67, v15, v4, v67                                // 00000000A98C: D1CB0043 050E090F
	v_mfma_f32_16x16x32_fp8_fp8 v[12:15], a[72:73], a[24:25], 0// 00000000A994: D3F3000C 1A023148
	buffer_load_dwordx4 a[124:127], v49, s[24:27], 0 offen offset:1024// 00000000A99C: E05C1400 80867C31
	v_mfma_f32_16x16x32_fp8_fp8 v[12:15], a[74:75], a[26:27], v[12:15]// 00000000A9A4: D3F3000C 1C32354A
	v_mfma_f32_16x16x32_fp8_fp8 v[12:15], a[76:77], a[28:29], v[12:15]// 00000000A9AC: D3F3000C 1C32394C
	v_mfma_f32_16x16x32_fp8_fp8 v[12:15], a[78:79], a[30:31], v[12:15]// 00000000A9B4: D3F3000C 1C323D4E
	v_fma_f32 v76, v8, v6, v76                                 // 00000000A9BC: D1CB004C 05320D08
	v_fma_f32 v77, v9, v6, v77                                 // 00000000A9C4: D1CB004D 05360D09
	v_fma_f32 v78, v10, v6, v78                                // 00000000A9CC: D1CB004E 053A0D0A
	v_fma_f32 v79, v11, v6, v79                                // 00000000A9D4: D1CB004F 053E0D0B
	v_mul_f32_dpp v4, v24, v34 row_newbcast:0 row_mask:0xf bank_mask:0xf// 00000000A9DC: 0A0844FA FF015018
	v_mfma_f32_16x16x32_fp8_fp8 v[8:11], a[48:49], a[32:33], 0 // 00000000A9E4: D3F30008 1A024130
	buffer_load_dwordx4 a[128:131], v50, s[24:27], 0 offen     // 00000000A9EC: E05C1000 80868032
	v_mfma_f32_16x16x32_fp8_fp8 v[8:11], a[50:51], a[34:35], v[8:11]// 00000000A9F4: D3F30008 1C224532
	v_mfma_f32_16x16x32_fp8_fp8 v[8:11], a[52:53], a[36:37], v[8:11]// 00000000A9FC: D3F30008 1C224934
	v_mfma_f32_16x16x32_fp8_fp8 v[8:11], a[54:55], a[38:39], v[8:11]// 00000000AA04: D3F30008 1C224D36
	v_fma_f32 v88, v12, v6, v88                                // 00000000AA0C: D1CB0058 05620D0C
	v_fma_f32 v89, v13, v6, v89                                // 00000000AA14: D1CB0059 05660D0D
	v_fma_f32 v90, v14, v6, v90                                // 00000000AA1C: D1CB005A 056A0D0E
	v_fma_f32 v91, v15, v6, v91                                // 00000000AA24: D1CB005B 056E0D0F
	v_mfma_f32_16x16x32_fp8_fp8 v[12:15], a[56:57], a[32:33], 0// 00000000AA2C: D3F3000C 1A024138
	buffer_load_dwordx4 a[132:135], v50, s[24:27], 0 offen offset:1024// 00000000AA34: E05C1400 80868432
	v_mfma_f32_16x16x32_fp8_fp8 v[12:15], a[58:59], a[34:35], v[12:15]// 00000000AA3C: D3F3000C 1C32453A
	v_mfma_f32_16x16x32_fp8_fp8 v[12:15], a[60:61], a[36:37], v[12:15]// 00000000AA44: D3F3000C 1C32493C
	v_mfma_f32_16x16x32_fp8_fp8 v[12:15], a[62:63], a[38:39], v[12:15]// 00000000AA4C: D3F3000C 1C324D3E
	v_fma_f32 v56, v8, v4, v56                                 // 00000000AA54: D1CB0038 04E20908
	v_fma_f32 v57, v9, v4, v57                                 // 00000000AA5C: D1CB0039 04E60909
	v_fma_f32 v58, v10, v4, v58                                // 00000000AA64: D1CB003A 04EA090A
	v_fma_f32 v59, v11, v4, v59                                // 00000000AA6C: D1CB003B 04EE090B
	v_mul_f32_dpp v6, v24, v34 row_newbcast:1 row_mask:0xf bank_mask:0xf// 00000000AA74: 0A0C44FA FF015118
	v_mfma_f32_16x16x32_fp8_fp8 v[8:11], a[64:65], a[32:33], 0 // 00000000AA7C: D3F30008 1A024140
	buffer_load_dwordx4 a[136:139], v51, s[24:27], 0 offen     // 00000000AA84: E05C1000 80868833
	v_mfma_f32_16x16x32_fp8_fp8 v[8:11], a[66:67], a[34:35], v[8:11]// 00000000AA8C: D3F30008 1C224542
	v_mfma_f32_16x16x32_fp8_fp8 v[8:11], a[68:69], a[36:37], v[8:11]// 00000000AA94: D3F30008 1C224944
	v_mfma_f32_16x16x32_fp8_fp8 v[8:11], a[70:71], a[38:39], v[8:11]// 00000000AA9C: D3F30008 1C224D46
	v_fma_f32 v68, v12, v4, v68                                // 00000000AAA4: D1CB0044 0512090C
	v_fma_f32 v69, v13, v4, v69                                // 00000000AAAC: D1CB0045 0516090D
	v_fma_f32 v70, v14, v4, v70                                // 00000000AAB4: D1CB0046 051A090E
	v_fma_f32 v71, v15, v4, v71                                // 00000000AABC: D1CB0047 051E090F
	v_mfma_f32_16x16x32_fp8_fp8 v[12:15], a[72:73], a[32:33], 0// 00000000AAC4: D3F3000C 1A024148
	buffer_load_dwordx4 a[140:143], v51, s[24:27], 0 offen offset:1024// 00000000AACC: E05C1400 80868C33
	buffer_load_dword v42, s[20:23], 0 offen lds               // 00000000AAD4: E0511000 8005002A
	s_add_u32 m0, 0x100, s50                                   // 00000000AADC: 807C32FF 00000100
	v_mfma_f32_16x16x32_fp8_fp8 v[12:15], a[74:75], a[34:35], v[12:15]// 00000000AAE4: D3F3000C 1C32454A
	v_mfma_f32_16x16x32_fp8_fp8 v[12:15], a[76:77], a[36:37], v[12:15]// 00000000AAEC: D3F3000C 1C32494C
	buffer_load_dword v43, s[20:23], 0 offen lds               // 00000000AAF4: E0511000 8005002B
	s_add_u32 m0, 0x200, s50                                   // 00000000AAFC: 807C32FF 00000200
	v_mfma_f32_16x16x32_fp8_fp8 v[12:15], a[78:79], a[38:39], v[12:15]// 00000000AB04: D3F3000C 1C324D4E
	v_fma_f32 v80, v8, v6, v80                                 // 00000000AB0C: D1CB0050 05420D08
	v_fma_f32 v81, v9, v6, v81                                 // 00000000AB14: D1CB0051 05460D09
	v_fma_f32 v82, v10, v6, v82                                // 00000000AB1C: D1CB0052 054A0D0A
	v_fma_f32 v83, v11, v6, v83                                // 00000000AB24: D1CB0053 054E0D0B
	v_mul_f32_dpp v4, v24, v35 row_newbcast:0 row_mask:0xf bank_mask:0xf// 00000000AB2C: 0A0846FA FF015018
	v_mfma_f32_16x16x32_fp8_fp8 v[8:11], a[48:49], a[40:41], 0 // 00000000AB34: D3F30008 1A025130
	buffer_load_dword v44, s[20:23], 0 offen lds               // 00000000AB3C: E0511000 8005002C
	s_add_u32 m0, 0x300, s50                                   // 00000000AB44: 807C32FF 00000300
	v_mfma_f32_16x16x32_fp8_fp8 v[8:11], a[50:51], a[42:43], v[8:11]// 00000000AB4C: D3F30008 1C225532
	v_mfma_f32_16x16x32_fp8_fp8 v[8:11], a[52:53], a[44:45], v[8:11]// 00000000AB54: D3F30008 1C225934
	buffer_load_dword v45, s[20:23], 0 offen lds               // 00000000AB5C: E0511000 8005002D
	s_add_u32 m0, 0x400, s50                                   // 00000000AB64: 807C32FF 00000400
	v_mfma_f32_16x16x32_fp8_fp8 v[8:11], a[54:55], a[46:47], v[8:11]// 00000000AB6C: D3F30008 1C225D36
	v_fma_f32 v92, v12, v6, v92                                // 00000000AB74: D1CB005C 05720D0C
	v_fma_f32 v93, v13, v6, v93                                // 00000000AB7C: D1CB005D 05760D0D
	v_fma_f32 v94, v14, v6, v94                                // 00000000AB84: D1CB005E 057A0D0E
	v_fma_f32 v95, v15, v6, v95                                // 00000000AB8C: D1CB005F 057E0D0F
	v_mfma_f32_16x16x32_fp8_fp8 v[12:15], a[56:57], a[40:41], 0// 00000000AB94: D3F3000C 1A025138
	buffer_load_dword v46, s[20:23], 0 offen lds               // 00000000AB9C: E0511000 8005002E
	s_add_u32 m0, 0x500, s50                                   // 00000000ABA4: 807C32FF 00000500
	v_mfma_f32_16x16x32_fp8_fp8 v[12:15], a[58:59], a[42:43], v[12:15]// 00000000ABAC: D3F3000C 1C32553A
	v_mfma_f32_16x16x32_fp8_fp8 v[12:15], a[60:61], a[44:45], v[12:15]// 00000000ABB4: D3F3000C 1C32593C
	buffer_load_dword v47, s[20:23], 0 offen lds               // 00000000ABBC: E0511000 8005002F
	s_add_u32 m0, 0, s48                                       // 00000000ABC4: 807C3080
	v_mfma_f32_16x16x32_fp8_fp8 v[12:15], a[62:63], a[46:47], v[12:15]// 00000000ABC8: D3F3000C 1C325D3E
	v_fma_f32 v60, v8, v4, v60                                 // 00000000ABD0: D1CB003C 04F20908
	v_fma_f32 v61, v9, v4, v61                                 // 00000000ABD8: D1CB003D 04F60909
	v_fma_f32 v62, v10, v4, v62                                // 00000000ABE0: D1CB003E 04FA090A
	v_fma_f32 v63, v11, v4, v63                                // 00000000ABE8: D1CB003F 04FE090B
	v_mul_f32_dpp v6, v24, v35 row_newbcast:1 row_mask:0xf bank_mask:0xf// 00000000ABF0: 0A0C46FA FF015118
	v_mfma_f32_16x16x32_fp8_fp8 v[8:11], a[64:65], a[40:41], 0 // 00000000ABF8: D3F30008 1A025140
	buffer_load_dword v39, v30, s[28:31], 0 offen              // 00000000AC00: E0501000 8007271E
	v_mfma_f32_16x16x32_fp8_fp8 v[8:11], a[66:67], a[42:43], v[8:11]// 00000000AC08: D3F30008 1C225542
	v_mfma_f32_16x16x32_fp8_fp8 v[8:11], a[68:69], a[44:45], v[8:11]// 00000000AC10: D3F30008 1C225944
	buffer_load_dword v40, v31, s[28:31], 0 offen              // 00000000AC18: E0501000 8007281F
	v_mfma_f32_16x16x32_fp8_fp8 v[8:11], a[70:71], a[46:47], v[8:11]// 00000000AC20: D3F30008 1C225D46
	v_fma_f32 v72, v12, v4, v72                                // 00000000AC28: D1CB0048 0522090C
	v_fma_f32 v73, v13, v4, v73                                // 00000000AC30: D1CB0049 0526090D
	v_fma_f32 v74, v14, v4, v74                                // 00000000AC38: D1CB004A 052A090E
	v_fma_f32 v75, v15, v4, v75                                // 00000000AC40: D1CB004B 052E090F
	v_mfma_f32_16x16x32_fp8_fp8 v[12:15], a[72:73], a[40:41], 0// 00000000AC48: D3F3000C 1A025148
	buffer_load_dword v41, v32, s[28:31], 0 offen              // 00000000AC50: E0501000 80072920
	v_mfma_f32_16x16x32_fp8_fp8 v[12:15], a[74:75], a[42:43], v[12:15]// 00000000AC58: D3F3000C 1C32554A
	v_mfma_f32_16x16x32_fp8_fp8 v[12:15], a[76:77], a[44:45], v[12:15]// 00000000AC60: D3F3000C 1C32594C
	v_mfma_f32_16x16x32_fp8_fp8 v[12:15], a[78:79], a[46:47], v[12:15]// 00000000AC68: D3F3000C 1C325D4E
	v_fma_f32 v84, v8, v6, v84                                 // 00000000AC70: D1CB0054 05520D08
	v_fma_f32 v85, v9, v6, v85                                 // 00000000AC78: D1CB0055 05560D09
	v_fma_f32 v86, v10, v6, v86                                // 00000000AC80: D1CB0056 055A0D0A
	v_fma_f32 v87, v11, v6, v87                                // 00000000AC88: D1CB0057 055E0D0B
	v_fma_f32 v96, v12, v6, v96                                // 00000000AC90: D1CB0060 05820D0C
	v_fma_f32 v97, v13, v6, v97                                // 00000000AC98: D1CB0061 05860D0D
	v_fma_f32 v98, v14, v6, v98                                // 00000000ACA0: D1CB0062 058A0D0E
	v_fma_f32 v99, v15, v6, v99                                // 00000000ACA8: D1CB0063 058E0D0F
	s_waitcnt vmcnt(18)                                        // 00000000ACB0: BF8C4F72
	s_barrier                                                  // 00000000ACB4: BF8A0000
	v_mul_f32_dpp v4, v27, v33 row_newbcast:0 row_mask:0xf bank_mask:0xf// 00000000ACB8: 0A0842FA FF01501B
	v_mfma_f32_16x16x32_fp8_fp8 v[8:11], a[80:81], a[24:25], 0 // 00000000ACC0: D3F30008 1A023150
	buffer_load_dword v28, v23, s[32:35], 0 offen              // 00000000ACC8: E0501000 80081C17
	buffer_load_dwordx4 a[48:51], v48, s[84:87], 0 offen       // 00000000ACD0: E05C1000 80953030
	v_mfma_f32_16x16x32_fp8_fp8 v[8:11], a[82:83], a[26:27], v[8:11]// 00000000ACD8: D3F30008 1C223552
	v_mfma_f32_16x16x32_fp8_fp8 v[8:11], a[84:85], a[28:29], v[8:11]// 00000000ACE0: D3F30008 1C223954
	ds_read_b128 a[0:3], v2 offset:6272                        // 00000000ACE8: DBFE1880 00000002
	ds_read_b128 a[4:7], v2 offset:6336                        // 00000000ACF0: DBFE18C0 04000002
	v_mfma_f32_16x16x32_fp8_fp8 v[8:11], a[86:87], a[30:31], v[8:11]// 00000000ACF8: D3F30008 1C223D56
	v_mfma_f32_16x16x32_fp8_fp8 v[12:15], a[88:89], a[24:25], 0// 00000000AD00: D3F3000C 1A023158
	buffer_load_dwordx4 a[52:55], v48, s[84:87], 0 offen offset:1024// 00000000AD08: E05C1400 80953430
	v_mfma_f32_16x16x32_fp8_fp8 v[12:15], a[90:91], a[26:27], v[12:15]// 00000000AD10: D3F3000C 1C32355A
	v_mfma_f32_16x16x32_fp8_fp8 v[12:15], a[92:93], a[28:29], v[12:15]// 00000000AD18: D3F3000C 1C32395C
	ds_read_b128 a[8:11], v2 offset:6784                       // 00000000AD20: DBFE1A80 08000002
	ds_read_b128 a[12:15], v2 offset:6848                      // 00000000AD28: DBFE1AC0 0C000002
	v_mfma_f32_16x16x32_fp8_fp8 v[12:15], a[94:95], a[30:31], v[12:15]// 00000000AD30: D3F3000C 1C323D5E
	v_fma_f32 v100, v8, v4, v100                               // 00000000AD38: D1CB0064 05920908
	v_fma_f32 v101, v9, v4, v101                               // 00000000AD40: D1CB0065 05960909
	v_fma_f32 v102, v10, v4, v102                              // 00000000AD48: D1CB0066 059A090A
	v_fma_f32 v103, v11, v4, v103                              // 00000000AD50: D1CB0067 059E090B
	v_mul_f32_dpp v6, v27, v33 row_newbcast:1 row_mask:0xf bank_mask:0xf// 00000000AD58: 0A0C42FA FF01511B
	v_mfma_f32_16x16x32_fp8_fp8 v[8:11], a[96:97], a[24:25], 0 // 00000000AD60: D3F30008 1A023160
	buffer_load_dwordx4 a[56:59], v49, s[84:87], 0 offen       // 00000000AD68: E05C1000 80953831
	v_mfma_f32_16x16x32_fp8_fp8 v[8:11], a[98:99], a[26:27], v[8:11]// 00000000AD70: D3F30008 1C223562
	v_mfma_f32_16x16x32_fp8_fp8 v[8:11], a[100:101], a[28:29], v[8:11]// 00000000AD78: D3F30008 1C223964
	ds_read_b128 a[16:19], v2 offset:7296                      // 00000000AD80: DBFE1C80 10000002
	ds_read_b128 a[20:23], v2 offset:7360                      // 00000000AD88: DBFE1CC0 14000002
	v_mfma_f32_16x16x32_fp8_fp8 v[8:11], a[102:103], a[30:31], v[8:11]// 00000000AD90: D3F30008 1C223D66
	v_fma_f32 v112, v12, v4, v112                              // 00000000AD98: D1CB0070 05C2090C
	v_fma_f32 v113, v13, v4, v113                              // 00000000ADA0: D1CB0071 05C6090D
	v_fma_f32 v114, v14, v4, v114                              // 00000000ADA8: D1CB0072 05CA090E
	v_fma_f32 v115, v15, v4, v115                              // 00000000ADB0: D1CB0073 05CE090F
	v_mfma_f32_16x16x32_fp8_fp8 v[12:15], a[104:105], a[24:25], 0// 00000000ADB8: D3F3000C 1A023168
	buffer_load_dwordx4 a[60:63], v49, s[84:87], 0 offen offset:1024// 00000000ADC0: E05C1400 80953C31
	v_mfma_f32_16x16x32_fp8_fp8 v[12:15], a[106:107], a[26:27], v[12:15]// 00000000ADC8: D3F3000C 1C32356A
	v_mfma_f32_16x16x32_fp8_fp8 v[12:15], a[108:109], a[28:29], v[12:15]// 00000000ADD0: D3F3000C 1C32396C
	v_mfma_f32_16x16x32_fp8_fp8 v[12:15], a[110:111], a[30:31], v[12:15]// 00000000ADD8: D3F3000C 1C323D6E
	v_fma_f32 v124, v8, v6, v124                               // 00000000ADE0: D1CB007C 05F20D08
	v_fma_f32 v125, v9, v6, v125                               // 00000000ADE8: D1CB007D 05F60D09
	v_fma_f32 v126, v10, v6, v126                              // 00000000ADF0: D1CB007E 05FA0D0A
	v_fma_f32 v127, v11, v6, v127                              // 00000000ADF8: D1CB007F 05FE0D0B
	v_mul_f32_dpp v4, v27, v34 row_newbcast:0 row_mask:0xf bank_mask:0xf// 00000000AE00: 0A0844FA FF01501B
	v_mfma_f32_16x16x32_fp8_fp8 v[8:11], a[80:81], a[32:33], 0 // 00000000AE08: D3F30008 1A024150
	buffer_load_dwordx4 a[64:67], v50, s[84:87], 0 offen       // 00000000AE10: E05C1000 80954032
	v_mfma_f32_16x16x32_fp8_fp8 v[8:11], a[82:83], a[34:35], v[8:11]// 00000000AE18: D3F30008 1C224552
	v_mfma_f32_16x16x32_fp8_fp8 v[8:11], a[84:85], a[36:37], v[8:11]// 00000000AE20: D3F30008 1C224954
	v_mfma_f32_16x16x32_fp8_fp8 v[8:11], a[86:87], a[38:39], v[8:11]// 00000000AE28: D3F30008 1C224D56
	v_fma_f32 v136, v12, v6, v136                              // 00000000AE30: D1CB0088 06220D0C
	v_fma_f32 v137, v13, v6, v137                              // 00000000AE38: D1CB0089 06260D0D
	v_fma_f32 v138, v14, v6, v138                              // 00000000AE40: D1CB008A 062A0D0E
	v_fma_f32 v139, v15, v6, v139                              // 00000000AE48: D1CB008B 062E0D0F
	v_mfma_f32_16x16x32_fp8_fp8 v[12:15], a[88:89], a[32:33], 0// 00000000AE50: D3F3000C 1A024158
	buffer_load_dwordx4 a[68:71], v50, s[84:87], 0 offen offset:1024// 00000000AE58: E05C1400 80954432
	v_mfma_f32_16x16x32_fp8_fp8 v[12:15], a[90:91], a[34:35], v[12:15]// 00000000AE60: D3F3000C 1C32455A
	v_mfma_f32_16x16x32_fp8_fp8 v[12:15], a[92:93], a[36:37], v[12:15]// 00000000AE68: D3F3000C 1C32495C
	v_mfma_f32_16x16x32_fp8_fp8 v[12:15], a[94:95], a[38:39], v[12:15]// 00000000AE70: D3F3000C 1C324D5E
	v_fma_f32 v104, v8, v4, v104                               // 00000000AE78: D1CB0068 05A20908
	v_fma_f32 v105, v9, v4, v105                               // 00000000AE80: D1CB0069 05A60909
	v_fma_f32 v106, v10, v4, v106                              // 00000000AE88: D1CB006A 05AA090A
	v_fma_f32 v107, v11, v4, v107                              // 00000000AE90: D1CB006B 05AE090B
	v_mul_f32_dpp v6, v27, v34 row_newbcast:1 row_mask:0xf bank_mask:0xf// 00000000AE98: 0A0C44FA FF01511B
	v_mfma_f32_16x16x32_fp8_fp8 v[8:11], a[96:97], a[32:33], 0 // 00000000AEA0: D3F30008 1A024160
	buffer_load_dwordx4 a[72:75], v51, s[84:87], 0 offen       // 00000000AEA8: E05C1000 80954833
	v_mfma_f32_16x16x32_fp8_fp8 v[8:11], a[98:99], a[34:35], v[8:11]// 00000000AEB0: D3F30008 1C224562
	v_mfma_f32_16x16x32_fp8_fp8 v[8:11], a[100:101], a[36:37], v[8:11]// 00000000AEB8: D3F30008 1C224964
	v_mfma_f32_16x16x32_fp8_fp8 v[8:11], a[102:103], a[38:39], v[8:11]// 00000000AEC0: D3F30008 1C224D66
	v_fma_f32 v116, v12, v4, v116                              // 00000000AEC8: D1CB0074 05D2090C
	v_fma_f32 v117, v13, v4, v117                              // 00000000AED0: D1CB0075 05D6090D
	v_fma_f32 v118, v14, v4, v118                              // 00000000AED8: D1CB0076 05DA090E
	v_fma_f32 v119, v15, v4, v119                              // 00000000AEE0: D1CB0077 05DE090F
	v_mfma_f32_16x16x32_fp8_fp8 v[12:15], a[104:105], a[32:33], 0// 00000000AEE8: D3F3000C 1A024168
	buffer_load_dwordx4 a[76:79], v51, s[84:87], 0 offen offset:1024// 00000000AEF0: E05C1400 80954C33
	v_mfma_f32_16x16x32_fp8_fp8 v[12:15], a[106:107], a[34:35], v[12:15]// 00000000AEF8: D3F3000C 1C32456A
	v_mfma_f32_16x16x32_fp8_fp8 v[12:15], a[108:109], a[36:37], v[12:15]// 00000000AF00: D3F3000C 1C32496C
	v_mfma_f32_16x16x32_fp8_fp8 v[12:15], a[110:111], a[38:39], v[12:15]// 00000000AF08: D3F3000C 1C324D6E
	v_fma_f32 v128, v8, v6, v128                               // 00000000AF10: D1CB0080 06020D08
	v_fma_f32 v129, v9, v6, v129                               // 00000000AF18: D1CB0081 06060D09
	v_fma_f32 v130, v10, v6, v130                              // 00000000AF20: D1CB0082 060A0D0A
	v_fma_f32 v131, v11, v6, v131                              // 00000000AF28: D1CB0083 060E0D0B
	v_mul_f32_dpp v4, v27, v35 row_newbcast:0 row_mask:0xf bank_mask:0xf// 00000000AF30: 0A0846FA FF01501B
	v_mfma_f32_16x16x32_fp8_fp8 v[8:11], a[80:81], a[40:41], 0 // 00000000AF38: D3F30008 1A025150
	v_mfma_f32_16x16x32_fp8_fp8 v[8:11], a[82:83], a[42:43], v[8:11]// 00000000AF40: D3F30008 1C225552
	v_mfma_f32_16x16x32_fp8_fp8 v[8:11], a[84:85], a[44:45], v[8:11]// 00000000AF48: D3F30008 1C225954
	v_mfma_f32_16x16x32_fp8_fp8 v[8:11], a[86:87], a[46:47], v[8:11]// 00000000AF50: D3F30008 1C225D56
	v_fma_f32 v140, v12, v6, v140                              // 00000000AF58: D1CB008C 06320D0C
	v_fma_f32 v141, v13, v6, v141                              // 00000000AF60: D1CB008D 06360D0D
	v_fma_f32 v142, v14, v6, v142                              // 00000000AF68: D1CB008E 063A0D0E
	v_fma_f32 v143, v15, v6, v143                              // 00000000AF70: D1CB008F 063E0D0F
	v_mfma_f32_16x16x32_fp8_fp8 v[12:15], a[88:89], a[40:41], 0// 00000000AF78: D3F3000C 1A025158
	v_mfma_f32_16x16x32_fp8_fp8 v[12:15], a[90:91], a[42:43], v[12:15]// 00000000AF80: D3F3000C 1C32555A
	v_mfma_f32_16x16x32_fp8_fp8 v[12:15], a[92:93], a[44:45], v[12:15]// 00000000AF88: D3F3000C 1C32595C
	v_mfma_f32_16x16x32_fp8_fp8 v[12:15], a[94:95], a[46:47], v[12:15]// 00000000AF90: D3F3000C 1C325D5E
	v_fma_f32 v108, v8, v4, v108                               // 00000000AF98: D1CB006C 05B20908
	v_fma_f32 v109, v9, v4, v109                               // 00000000AFA0: D1CB006D 05B60909
	v_fma_f32 v110, v10, v4, v110                              // 00000000AFA8: D1CB006E 05BA090A
	v_fma_f32 v111, v11, v4, v111                              // 00000000AFB0: D1CB006F 05BE090B
	v_mul_f32_dpp v6, v27, v35 row_newbcast:1 row_mask:0xf bank_mask:0xf// 00000000AFB8: 0A0C46FA FF01511B
	v_mfma_f32_16x16x32_fp8_fp8 v[8:11], a[96:97], a[40:41], 0 // 00000000AFC0: D3F30008 1A025160
	s_add_u32 s60, 0x180, s80                                  // 00000000AFC8: 803C50FF 00000180
	s_cmp_lt_u32 s60, s81                                      // 00000000AFD0: BF0A513C
	s_cselect_b32 s57, s57, 0                                  // 00000000AFD4: 85398039
	s_cselect_b32 s3, s3, 0                                    // 00000000AFD8: 85038003
	v_mfma_f32_16x16x32_fp8_fp8 v[8:11], a[98:99], a[42:43], v[8:11]// 00000000AFDC: D3F30008 1C225562
	s_add_u32 s60, 0x100, s80                                  // 00000000AFE4: 803C50FF 00000100
	s_cmp_lt_u32 s60, s81                                      // 00000000AFEC: BF0A513C
	s_cselect_b32 s58, s58, 0                                  // 00000000AFF0: 853A803A
	v_mfma_f32_16x16x32_fp8_fp8 v[8:11], a[100:101], a[44:45], v[8:11]// 00000000AFF4: D3F30008 1C225964
	s_add_u32 s60, 0x100, s80                                  // 00000000AFFC: 803C50FF 00000100
	s_cmp_lt_u32 s60, s81                                      // 00000000B004: BF0A513C
	s_cselect_b32 s83, s83, 0                                  // 00000000B008: 85538053
	s_cselect_b32 s4, s4, 0                                    // 00000000B00C: 85048004
	v_mfma_f32_16x16x32_fp8_fp8 v[8:11], a[102:103], a[46:47], v[8:11]// 00000000B010: D3F30008 1C225D66
	s_add_u32 s24, s58, s24                                    // 00000000B018: 8018183A
	s_addc_u32 s25, 0, s25                                     // 00000000B01C: 82191980
	v_fma_f32 v120, v12, v4, v120                              // 00000000B020: D1CB0078 05E2090C
	v_fma_f32 v121, v13, v4, v121                              // 00000000B028: D1CB0079 05E6090D
	v_fma_f32 v122, v14, v4, v122                              // 00000000B030: D1CB007A 05EA090E
	v_fma_f32 v123, v15, v4, v123                              // 00000000B038: D1CB007B 05EE090F
	v_mfma_f32_16x16x32_fp8_fp8 v[12:15], a[104:105], a[40:41], 0// 00000000B040: D3F3000C 1A025168
	s_add_u32 s20, s57, s20                                    // 00000000B048: 80141439
	s_addc_u32 s21, 0, s21                                     // 00000000B04C: 82151580
	s_add_u32 s28, s3, s28                                     // 00000000B050: 801C1C03
	s_addc_u32 s29, 0, s29                                     // 00000000B054: 821D1D80
	v_mfma_f32_16x16x32_fp8_fp8 v[12:15], a[106:107], a[42:43], v[12:15]// 00000000B058: D3F3000C 1C32556A
	s_add_u32 s84, s83, s84                                    // 00000000B060: 80545453
	s_addc_u32 s85, 0, s85                                     // 00000000B064: 82555580
	v_mfma_f32_16x16x32_fp8_fp8 v[12:15], a[108:109], a[44:45], v[12:15]// 00000000B068: D3F3000C 1C32596C
	s_add_u32 s32, s4, s32                                     // 00000000B070: 80202004
	s_addc_u32 s33, 0, s33                                     // 00000000B074: 82212180
	v_mfma_f32_16x16x32_fp8_fp8 v[12:15], a[110:111], a[46:47], v[12:15]// 00000000B078: D3F3000C 1C325D6E
	v_fma_f32 v132, v8, v6, v132                               // 00000000B080: D1CB0084 06120D08
	v_fma_f32 v133, v9, v6, v133                               // 00000000B088: D1CB0085 06160D09
	v_fma_f32 v134, v10, v6, v134                              // 00000000B090: D1CB0086 061A0D0A
	v_fma_f32 v135, v11, v6, v135                              // 00000000B098: D1CB0087 061E0D0B
	v_fma_f32 v144, v12, v6, v144                              // 00000000B0A0: D1CB0090 06420D0C
	v_fma_f32 v145, v13, v6, v145                              // 00000000B0A8: D1CB0091 06460D0D
	v_fma_f32 v146, v14, v6, v146                              // 00000000B0B0: D1CB0092 064A0D0E
	v_fma_f32 v147, v15, v6, v147                              // 00000000B0B8: D1CB0093 064E0D0F
	s_addk_i32 s80, 0x80                                       // 00000000B0C0: B7500080
	s_cmp_lt_i32 s80, s81                                      // 00000000B0C4: BF045150
	s_cbranch_scc0 label_25BD                                  // 00000000B0C8: BF840407
	s_waitcnt vmcnt(18) lgkmcnt(0)                             // 00000000B0CC: BF8C4072
	v_mul_f32_dpp v4, v25, v36 row_newbcast:0 row_mask:0xf bank_mask:0xf// 00000000B0D0: 0A0848FA FF015019
	v_mfma_f32_16x16x32_fp8_fp8 v[8:11], a[112:113], a[0:1], 0 // 00000000B0D8: D3F30008 1A020170
	buffer_load_dword v26, v22, s[32:35], 0 offen              // 00000000B0E0: E0501000 80081A16
	buffer_load_dwordx4 a[80:83], v48, s[24:27], 0 offen       // 00000000B0E8: E05C1000 80865030
	v_mfma_f32_16x16x32_fp8_fp8 v[8:11], a[114:115], a[2:3], v[8:11]// 00000000B0F0: D3F30008 1C220572
	v_mfma_f32_16x16x32_fp8_fp8 v[8:11], a[116:117], a[4:5], v[8:11]// 00000000B0F8: D3F30008 1C220974
	v_mfma_f32_16x16x32_fp8_fp8 v[8:11], a[118:119], a[6:7], v[8:11]// 00000000B100: D3F30008 1C220D76
	v_mfma_f32_16x16x32_fp8_fp8 v[12:15], a[120:121], a[0:1], 0// 00000000B108: D3F3000C 1A020178
	buffer_load_dwordx4 a[84:87], v48, s[24:27], 0 offen offset:1024// 00000000B110: E05C1400 80865430
	v_mfma_f32_16x16x32_fp8_fp8 v[12:15], a[122:123], a[2:3], v[12:15]// 00000000B118: D3F3000C 1C32057A
	v_mfma_f32_16x16x32_fp8_fp8 v[12:15], a[124:125], a[4:5], v[12:15]// 00000000B120: D3F3000C 1C32097C
	v_mfma_f32_16x16x32_fp8_fp8 v[12:15], a[126:127], a[6:7], v[12:15]// 00000000B128: D3F3000C 1C320D7E
	v_fma_f32 v52, v8, v4, v52                                 // 00000000B130: D1CB0034 04D20908
	v_fma_f32 v53, v9, v4, v53                                 // 00000000B138: D1CB0035 04D60909
	v_fma_f32 v54, v10, v4, v54                                // 00000000B140: D1CB0036 04DA090A
	v_fma_f32 v55, v11, v4, v55                                // 00000000B148: D1CB0037 04DE090B
	v_mul_f32_dpp v6, v25, v36 row_newbcast:1 row_mask:0xf bank_mask:0xf// 00000000B150: 0A0C48FA FF015119
	v_mfma_f32_16x16x32_fp8_fp8 v[8:11], a[128:129], a[0:1], 0 // 00000000B158: D3F30008 1A020180
	buffer_load_dwordx4 a[88:91], v49, s[24:27], 0 offen       // 00000000B160: E05C1000 80865831
	v_mfma_f32_16x16x32_fp8_fp8 v[8:11], a[130:131], a[2:3], v[8:11]// 00000000B168: D3F30008 1C220582
	v_mfma_f32_16x16x32_fp8_fp8 v[8:11], a[132:133], a[4:5], v[8:11]// 00000000B170: D3F30008 1C220984
	v_mfma_f32_16x16x32_fp8_fp8 v[8:11], a[134:135], a[6:7], v[8:11]// 00000000B178: D3F30008 1C220D86
	v_fma_f32 v64, v12, v4, v64                                // 00000000B180: D1CB0040 0502090C
	v_fma_f32 v65, v13, v4, v65                                // 00000000B188: D1CB0041 0506090D
	v_fma_f32 v66, v14, v4, v66                                // 00000000B190: D1CB0042 050A090E
	v_fma_f32 v67, v15, v4, v67                                // 00000000B198: D1CB0043 050E090F
	v_mfma_f32_16x16x32_fp8_fp8 v[12:15], a[136:137], a[0:1], 0// 00000000B1A0: D3F3000C 1A020188
	buffer_load_dwordx4 a[92:95], v49, s[24:27], 0 offen offset:1024// 00000000B1A8: E05C1400 80865C31
	v_mfma_f32_16x16x32_fp8_fp8 v[12:15], a[138:139], a[2:3], v[12:15]// 00000000B1B0: D3F3000C 1C32058A
	v_mfma_f32_16x16x32_fp8_fp8 v[12:15], a[140:141], a[4:5], v[12:15]// 00000000B1B8: D3F3000C 1C32098C
	v_mfma_f32_16x16x32_fp8_fp8 v[12:15], a[142:143], a[6:7], v[12:15]// 00000000B1C0: D3F3000C 1C320D8E
	v_fma_f32 v76, v8, v6, v76                                 // 00000000B1C8: D1CB004C 05320D08
	v_fma_f32 v77, v9, v6, v77                                 // 00000000B1D0: D1CB004D 05360D09
	v_fma_f32 v78, v10, v6, v78                                // 00000000B1D8: D1CB004E 053A0D0A
	v_fma_f32 v79, v11, v6, v79                                // 00000000B1E0: D1CB004F 053E0D0B
	v_mul_f32_dpp v4, v25, v37 row_newbcast:0 row_mask:0xf bank_mask:0xf// 00000000B1E8: 0A084AFA FF015019
	v_mfma_f32_16x16x32_fp8_fp8 v[8:11], a[112:113], a[8:9], 0 // 00000000B1F0: D3F30008 1A021170
	buffer_load_dwordx4 a[96:99], v50, s[24:27], 0 offen       // 00000000B1F8: E05C1000 80866032
	v_mfma_f32_16x16x32_fp8_fp8 v[8:11], a[114:115], a[10:11], v[8:11]// 00000000B200: D3F30008 1C221572
	v_mfma_f32_16x16x32_fp8_fp8 v[8:11], a[116:117], a[12:13], v[8:11]// 00000000B208: D3F30008 1C221974
	v_mfma_f32_16x16x32_fp8_fp8 v[8:11], a[118:119], a[14:15], v[8:11]// 00000000B210: D3F30008 1C221D76
	v_fma_f32 v88, v12, v6, v88                                // 00000000B218: D1CB0058 05620D0C
	v_fma_f32 v89, v13, v6, v89                                // 00000000B220: D1CB0059 05660D0D
	v_fma_f32 v90, v14, v6, v90                                // 00000000B228: D1CB005A 056A0D0E
	v_fma_f32 v91, v15, v6, v91                                // 00000000B230: D1CB005B 056E0D0F
	v_mfma_f32_16x16x32_fp8_fp8 v[12:15], a[120:121], a[8:9], 0// 00000000B238: D3F3000C 1A021178
	buffer_load_dwordx4 a[100:103], v50, s[24:27], 0 offen offset:1024// 00000000B240: E05C1400 80866432
	v_mfma_f32_16x16x32_fp8_fp8 v[12:15], a[122:123], a[10:11], v[12:15]// 00000000B248: D3F3000C 1C32157A
	v_mfma_f32_16x16x32_fp8_fp8 v[12:15], a[124:125], a[12:13], v[12:15]// 00000000B250: D3F3000C 1C32197C
	v_mfma_f32_16x16x32_fp8_fp8 v[12:15], a[126:127], a[14:15], v[12:15]// 00000000B258: D3F3000C 1C321D7E
	v_fma_f32 v56, v8, v4, v56                                 // 00000000B260: D1CB0038 04E20908
	v_fma_f32 v57, v9, v4, v57                                 // 00000000B268: D1CB0039 04E60909
	v_fma_f32 v58, v10, v4, v58                                // 00000000B270: D1CB003A 04EA090A
	v_fma_f32 v59, v11, v4, v59                                // 00000000B278: D1CB003B 04EE090B
	v_mul_f32_dpp v6, v25, v37 row_newbcast:1 row_mask:0xf bank_mask:0xf// 00000000B280: 0A0C4AFA FF015119
	v_mfma_f32_16x16x32_fp8_fp8 v[8:11], a[128:129], a[8:9], 0 // 00000000B288: D3F30008 1A021180
	buffer_load_dwordx4 a[104:107], v51, s[24:27], 0 offen     // 00000000B290: E05C1000 80866833
	v_mfma_f32_16x16x32_fp8_fp8 v[8:11], a[130:131], a[10:11], v[8:11]// 00000000B298: D3F30008 1C221582
	v_mfma_f32_16x16x32_fp8_fp8 v[8:11], a[132:133], a[12:13], v[8:11]// 00000000B2A0: D3F30008 1C221984
	v_mfma_f32_16x16x32_fp8_fp8 v[8:11], a[134:135], a[14:15], v[8:11]// 00000000B2A8: D3F30008 1C221D86
	v_fma_f32 v68, v12, v4, v68                                // 00000000B2B0: D1CB0044 0512090C
	v_fma_f32 v69, v13, v4, v69                                // 00000000B2B8: D1CB0045 0516090D
	v_fma_f32 v70, v14, v4, v70                                // 00000000B2C0: D1CB0046 051A090E
	v_fma_f32 v71, v15, v4, v71                                // 00000000B2C8: D1CB0047 051E090F
	v_mfma_f32_16x16x32_fp8_fp8 v[12:15], a[136:137], a[8:9], 0// 00000000B2D0: D3F3000C 1A021188
	buffer_load_dwordx4 a[108:111], v51, s[24:27], 0 offen offset:1024// 00000000B2D8: E05C1400 80866C33
	buffer_load_dword v42, s[20:23], 0 offen lds               // 00000000B2E0: E0511000 8005002A
	s_add_u32 m0, 0x100, s48                                   // 00000000B2E8: 807C30FF 00000100
	v_mfma_f32_16x16x32_fp8_fp8 v[12:15], a[138:139], a[10:11], v[12:15]// 00000000B2F0: D3F3000C 1C32158A
	v_mfma_f32_16x16x32_fp8_fp8 v[12:15], a[140:141], a[12:13], v[12:15]// 00000000B2F8: D3F3000C 1C32198C
	buffer_load_dword v43, s[20:23], 0 offen lds               // 00000000B300: E0511000 8005002B
	s_add_u32 m0, 0x200, s48                                   // 00000000B308: 807C30FF 00000200
	v_mfma_f32_16x16x32_fp8_fp8 v[12:15], a[142:143], a[14:15], v[12:15]// 00000000B310: D3F3000C 1C321D8E
	v_fma_f32 v80, v8, v6, v80                                 // 00000000B318: D1CB0050 05420D08
	v_fma_f32 v81, v9, v6, v81                                 // 00000000B320: D1CB0051 05460D09
	v_fma_f32 v82, v10, v6, v82                                // 00000000B328: D1CB0052 054A0D0A
	v_fma_f32 v83, v11, v6, v83                                // 00000000B330: D1CB0053 054E0D0B
	v_mul_f32_dpp v4, v25, v38 row_newbcast:0 row_mask:0xf bank_mask:0xf// 00000000B338: 0A084CFA FF015019
	v_mfma_f32_16x16x32_fp8_fp8 v[8:11], a[112:113], a[16:17], 0// 00000000B340: D3F30008 1A022170
	buffer_load_dword v44, s[20:23], 0 offen lds               // 00000000B348: E0511000 8005002C
	s_add_u32 m0, 0x300, s48                                   // 00000000B350: 807C30FF 00000300
	v_mfma_f32_16x16x32_fp8_fp8 v[8:11], a[114:115], a[18:19], v[8:11]// 00000000B358: D3F30008 1C222572
	v_mfma_f32_16x16x32_fp8_fp8 v[8:11], a[116:117], a[20:21], v[8:11]// 00000000B360: D3F30008 1C222974
	buffer_load_dword v45, s[20:23], 0 offen lds               // 00000000B368: E0511000 8005002D
	s_add_u32 m0, 0x400, s48                                   // 00000000B370: 807C30FF 00000400
	v_mfma_f32_16x16x32_fp8_fp8 v[8:11], a[118:119], a[22:23], v[8:11]// 00000000B378: D3F30008 1C222D76
	v_fma_f32 v92, v12, v6, v92                                // 00000000B380: D1CB005C 05720D0C
	v_fma_f32 v93, v13, v6, v93                                // 00000000B388: D1CB005D 05760D0D
	v_fma_f32 v94, v14, v6, v94                                // 00000000B390: D1CB005E 057A0D0E
	v_fma_f32 v95, v15, v6, v95                                // 00000000B398: D1CB005F 057E0D0F
	v_mfma_f32_16x16x32_fp8_fp8 v[12:15], a[120:121], a[16:17], 0// 00000000B3A0: D3F3000C 1A022178
	buffer_load_dword v46, s[20:23], 0 offen lds               // 00000000B3A8: E0511000 8005002E
	s_add_u32 m0, 0x500, s48                                   // 00000000B3B0: 807C30FF 00000500
	v_mfma_f32_16x16x32_fp8_fp8 v[12:15], a[122:123], a[18:19], v[12:15]// 00000000B3B8: D3F3000C 1C32257A
	v_mfma_f32_16x16x32_fp8_fp8 v[12:15], a[124:125], a[20:21], v[12:15]// 00000000B3C0: D3F3000C 1C32297C
	buffer_load_dword v47, s[20:23], 0 offen lds               // 00000000B3C8: E0511000 8005002F
	s_add_u32 m0, 0, s49                                       // 00000000B3D0: 807C3180
	v_mfma_f32_16x16x32_fp8_fp8 v[12:15], a[126:127], a[22:23], v[12:15]// 00000000B3D4: D3F3000C 1C322D7E
	v_fma_f32 v60, v8, v4, v60                                 // 00000000B3DC: D1CB003C 04F20908
	v_fma_f32 v61, v9, v4, v61                                 // 00000000B3E4: D1CB003D 04F60909
	v_fma_f32 v62, v10, v4, v62                                // 00000000B3EC: D1CB003E 04FA090A
	v_fma_f32 v63, v11, v4, v63                                // 00000000B3F4: D1CB003F 04FE090B
	v_mul_f32_dpp v6, v25, v38 row_newbcast:1 row_mask:0xf bank_mask:0xf// 00000000B3FC: 0A0C4CFA FF015119
	v_mfma_f32_16x16x32_fp8_fp8 v[8:11], a[128:129], a[16:17], 0// 00000000B404: D3F30008 1A022180
	buffer_load_dword v33, v30, s[28:31], 0 offen              // 00000000B40C: E0501000 8007211E
	v_mfma_f32_16x16x32_fp8_fp8 v[8:11], a[130:131], a[18:19], v[8:11]// 00000000B414: D3F30008 1C222582
	v_mfma_f32_16x16x32_fp8_fp8 v[8:11], a[132:133], a[20:21], v[8:11]// 00000000B41C: D3F30008 1C222984
	buffer_load_dword v34, v31, s[28:31], 0 offen              // 00000000B424: E0501000 8007221F
	v_mfma_f32_16x16x32_fp8_fp8 v[8:11], a[134:135], a[22:23], v[8:11]// 00000000B42C: D3F30008 1C222D86
	v_fma_f32 v72, v12, v4, v72                                // 00000000B434: D1CB0048 0522090C
	v_fma_f32 v73, v13, v4, v73                                // 00000000B43C: D1CB0049 0526090D
	v_fma_f32 v74, v14, v4, v74                                // 00000000B444: D1CB004A 052A090E
	v_fma_f32 v75, v15, v4, v75                                // 00000000B44C: D1CB004B 052E090F
	v_mfma_f32_16x16x32_fp8_fp8 v[12:15], a[136:137], a[16:17], 0// 00000000B454: D3F3000C 1A022188
	buffer_load_dword v35, v32, s[28:31], 0 offen              // 00000000B45C: E0501000 80072320
	v_mfma_f32_16x16x32_fp8_fp8 v[12:15], a[138:139], a[18:19], v[12:15]// 00000000B464: D3F3000C 1C32258A
	v_mfma_f32_16x16x32_fp8_fp8 v[12:15], a[140:141], a[20:21], v[12:15]// 00000000B46C: D3F3000C 1C32298C
	v_mfma_f32_16x16x32_fp8_fp8 v[12:15], a[142:143], a[22:23], v[12:15]// 00000000B474: D3F3000C 1C322D8E
	v_fma_f32 v84, v8, v6, v84                                 // 00000000B47C: D1CB0054 05520D08
	v_fma_f32 v85, v9, v6, v85                                 // 00000000B484: D1CB0055 05560D09
	v_fma_f32 v86, v10, v6, v86                                // 00000000B48C: D1CB0056 055A0D0A
	v_fma_f32 v87, v11, v6, v87                                // 00000000B494: D1CB0057 055E0D0B
	v_fma_f32 v96, v12, v6, v96                                // 00000000B49C: D1CB0060 05820D0C
	v_fma_f32 v97, v13, v6, v97                                // 00000000B4A4: D1CB0061 05860D0D
	v_fma_f32 v98, v14, v6, v98                                // 00000000B4AC: D1CB0062 058A0D0E
	v_fma_f32 v99, v15, v6, v99                                // 00000000B4B4: D1CB0063 058E0D0F
	s_waitcnt vmcnt(18)                                        // 00000000B4BC: BF8C4F72
	s_barrier                                                  // 00000000B4C0: BF8A0000
	v_mul_f32_dpp v4, v28, v36 row_newbcast:0 row_mask:0xf bank_mask:0xf// 00000000B4C4: 0A0848FA FF01501C
	v_mfma_f32_16x16x32_fp8_fp8 v[8:11], a[48:49], a[0:1], 0   // 00000000B4CC: D3F30008 1A020130
	buffer_load_dword v29, v23, s[32:35], 0 offen              // 00000000B4D4: E0501000 80081D17
	buffer_load_dwordx4 a[112:115], v48, s[84:87], 0 offen     // 00000000B4DC: E05C1000 80957030
	v_mfma_f32_16x16x32_fp8_fp8 v[8:11], a[50:51], a[2:3], v[8:11]// 00000000B4E4: D3F30008 1C220532
	v_mfma_f32_16x16x32_fp8_fp8 v[8:11], a[52:53], a[4:5], v[8:11]// 00000000B4EC: D3F30008 1C220934
	ds_read_b128 a[24:27], v2 offset:12544                     // 00000000B4F4: DBFE3100 18000002
	ds_read_b128 a[28:31], v2 offset:12608                     // 00000000B4FC: DBFE3140 1C000002
	v_mfma_f32_16x16x32_fp8_fp8 v[8:11], a[54:55], a[6:7], v[8:11]// 00000000B504: D3F30008 1C220D36
	v_mfma_f32_16x16x32_fp8_fp8 v[12:15], a[56:57], a[0:1], 0  // 00000000B50C: D3F3000C 1A020138
	buffer_load_dwordx4 a[116:119], v48, s[84:87], 0 offen offset:1024// 00000000B514: E05C1400 80957430
	v_mfma_f32_16x16x32_fp8_fp8 v[12:15], a[58:59], a[2:3], v[12:15]// 00000000B51C: D3F3000C 1C32053A
	v_mfma_f32_16x16x32_fp8_fp8 v[12:15], a[60:61], a[4:5], v[12:15]// 00000000B524: D3F3000C 1C32093C
	ds_read_b128 a[32:35], v2 offset:13056                     // 00000000B52C: DBFE3300 20000002
	ds_read_b128 a[36:39], v2 offset:13120                     // 00000000B534: DBFE3340 24000002
	v_mfma_f32_16x16x32_fp8_fp8 v[12:15], a[62:63], a[6:7], v[12:15]// 00000000B53C: D3F3000C 1C320D3E
	v_fma_f32 v100, v8, v4, v100                               // 00000000B544: D1CB0064 05920908
	v_fma_f32 v101, v9, v4, v101                               // 00000000B54C: D1CB0065 05960909
	v_fma_f32 v102, v10, v4, v102                              // 00000000B554: D1CB0066 059A090A
	v_fma_f32 v103, v11, v4, v103                              // 00000000B55C: D1CB0067 059E090B
	v_mul_f32_dpp v6, v28, v36 row_newbcast:1 row_mask:0xf bank_mask:0xf// 00000000B564: 0A0C48FA FF01511C
	v_mfma_f32_16x16x32_fp8_fp8 v[8:11], a[64:65], a[0:1], 0   // 00000000B56C: D3F30008 1A020140
	buffer_load_dwordx4 a[120:123], v49, s[84:87], 0 offen     // 00000000B574: E05C1000 80957831
	v_mfma_f32_16x16x32_fp8_fp8 v[8:11], a[66:67], a[2:3], v[8:11]// 00000000B57C: D3F30008 1C220542
	v_mfma_f32_16x16x32_fp8_fp8 v[8:11], a[68:69], a[4:5], v[8:11]// 00000000B584: D3F30008 1C220944
	ds_read_b128 a[40:43], v2 offset:13568                     // 00000000B58C: DBFE3500 28000002
	ds_read_b128 a[44:47], v2 offset:13632                     // 00000000B594: DBFE3540 2C000002
	v_mfma_f32_16x16x32_fp8_fp8 v[8:11], a[70:71], a[6:7], v[8:11]// 00000000B59C: D3F30008 1C220D46
	v_fma_f32 v112, v12, v4, v112                              // 00000000B5A4: D1CB0070 05C2090C
	v_fma_f32 v113, v13, v4, v113                              // 00000000B5AC: D1CB0071 05C6090D
	v_fma_f32 v114, v14, v4, v114                              // 00000000B5B4: D1CB0072 05CA090E
	v_fma_f32 v115, v15, v4, v115                              // 00000000B5BC: D1CB0073 05CE090F
	v_mfma_f32_16x16x32_fp8_fp8 v[12:15], a[72:73], a[0:1], 0  // 00000000B5C4: D3F3000C 1A020148
	buffer_load_dwordx4 a[124:127], v49, s[84:87], 0 offen offset:1024// 00000000B5CC: E05C1400 80957C31
	v_mfma_f32_16x16x32_fp8_fp8 v[12:15], a[74:75], a[2:3], v[12:15]// 00000000B5D4: D3F3000C 1C32054A
	v_mfma_f32_16x16x32_fp8_fp8 v[12:15], a[76:77], a[4:5], v[12:15]// 00000000B5DC: D3F3000C 1C32094C
	v_mfma_f32_16x16x32_fp8_fp8 v[12:15], a[78:79], a[6:7], v[12:15]// 00000000B5E4: D3F3000C 1C320D4E
	v_fma_f32 v124, v8, v6, v124                               // 00000000B5EC: D1CB007C 05F20D08
	v_fma_f32 v125, v9, v6, v125                               // 00000000B5F4: D1CB007D 05F60D09
	v_fma_f32 v126, v10, v6, v126                              // 00000000B5FC: D1CB007E 05FA0D0A
	v_fma_f32 v127, v11, v6, v127                              // 00000000B604: D1CB007F 05FE0D0B
	v_mul_f32_dpp v4, v28, v37 row_newbcast:0 row_mask:0xf bank_mask:0xf// 00000000B60C: 0A084AFA FF01501C
	v_mfma_f32_16x16x32_fp8_fp8 v[8:11], a[48:49], a[8:9], 0   // 00000000B614: D3F30008 1A021130
	buffer_load_dwordx4 a[128:131], v50, s[84:87], 0 offen     // 00000000B61C: E05C1000 80958032
	v_mfma_f32_16x16x32_fp8_fp8 v[8:11], a[50:51], a[10:11], v[8:11]// 00000000B624: D3F30008 1C221532
	v_mfma_f32_16x16x32_fp8_fp8 v[8:11], a[52:53], a[12:13], v[8:11]// 00000000B62C: D3F30008 1C221934
	v_mfma_f32_16x16x32_fp8_fp8 v[8:11], a[54:55], a[14:15], v[8:11]// 00000000B634: D3F30008 1C221D36
	v_fma_f32 v136, v12, v6, v136                              // 00000000B63C: D1CB0088 06220D0C
	v_fma_f32 v137, v13, v6, v137                              // 00000000B644: D1CB0089 06260D0D
	v_fma_f32 v138, v14, v6, v138                              // 00000000B64C: D1CB008A 062A0D0E
	v_fma_f32 v139, v15, v6, v139                              // 00000000B654: D1CB008B 062E0D0F
	v_mfma_f32_16x16x32_fp8_fp8 v[12:15], a[56:57], a[8:9], 0  // 00000000B65C: D3F3000C 1A021138
	buffer_load_dwordx4 a[132:135], v50, s[84:87], 0 offen offset:1024// 00000000B664: E05C1400 80958432
	v_mfma_f32_16x16x32_fp8_fp8 v[12:15], a[58:59], a[10:11], v[12:15]// 00000000B66C: D3F3000C 1C32153A
	v_mfma_f32_16x16x32_fp8_fp8 v[12:15], a[60:61], a[12:13], v[12:15]// 00000000B674: D3F3000C 1C32193C
	v_mfma_f32_16x16x32_fp8_fp8 v[12:15], a[62:63], a[14:15], v[12:15]// 00000000B67C: D3F3000C 1C321D3E
	v_fma_f32 v104, v8, v4, v104                               // 00000000B684: D1CB0068 05A20908
	v_fma_f32 v105, v9, v4, v105                               // 00000000B68C: D1CB0069 05A60909
	v_fma_f32 v106, v10, v4, v106                              // 00000000B694: D1CB006A 05AA090A
	v_fma_f32 v107, v11, v4, v107                              // 00000000B69C: D1CB006B 05AE090B
	v_mul_f32_dpp v6, v28, v37 row_newbcast:1 row_mask:0xf bank_mask:0xf// 00000000B6A4: 0A0C4AFA FF01511C
	v_mfma_f32_16x16x32_fp8_fp8 v[8:11], a[64:65], a[8:9], 0   // 00000000B6AC: D3F30008 1A021140
	buffer_load_dwordx4 a[136:139], v51, s[84:87], 0 offen     // 00000000B6B4: E05C1000 80958833
	v_mfma_f32_16x16x32_fp8_fp8 v[8:11], a[66:67], a[10:11], v[8:11]// 00000000B6BC: D3F30008 1C221542
	v_mfma_f32_16x16x32_fp8_fp8 v[8:11], a[68:69], a[12:13], v[8:11]// 00000000B6C4: D3F30008 1C221944
	v_mfma_f32_16x16x32_fp8_fp8 v[8:11], a[70:71], a[14:15], v[8:11]// 00000000B6CC: D3F30008 1C221D46
	v_fma_f32 v116, v12, v4, v116                              // 00000000B6D4: D1CB0074 05D2090C
	v_fma_f32 v117, v13, v4, v117                              // 00000000B6DC: D1CB0075 05D6090D
	v_fma_f32 v118, v14, v4, v118                              // 00000000B6E4: D1CB0076 05DA090E
	v_fma_f32 v119, v15, v4, v119                              // 00000000B6EC: D1CB0077 05DE090F
	v_mfma_f32_16x16x32_fp8_fp8 v[12:15], a[72:73], a[8:9], 0  // 00000000B6F4: D3F3000C 1A021148
	buffer_load_dwordx4 a[140:143], v51, s[84:87], 0 offen offset:1024// 00000000B6FC: E05C1400 80958C33
	v_mfma_f32_16x16x32_fp8_fp8 v[12:15], a[74:75], a[10:11], v[12:15]// 00000000B704: D3F3000C 1C32154A
	v_mfma_f32_16x16x32_fp8_fp8 v[12:15], a[76:77], a[12:13], v[12:15]// 00000000B70C: D3F3000C 1C32194C
	v_mfma_f32_16x16x32_fp8_fp8 v[12:15], a[78:79], a[14:15], v[12:15]// 00000000B714: D3F3000C 1C321D4E
	v_fma_f32 v128, v8, v6, v128                               // 00000000B71C: D1CB0080 06020D08
	v_fma_f32 v129, v9, v6, v129                               // 00000000B724: D1CB0081 06060D09
	v_fma_f32 v130, v10, v6, v130                              // 00000000B72C: D1CB0082 060A0D0A
	v_fma_f32 v131, v11, v6, v131                              // 00000000B734: D1CB0083 060E0D0B
	v_mul_f32_dpp v4, v28, v38 row_newbcast:0 row_mask:0xf bank_mask:0xf// 00000000B73C: 0A084CFA FF01501C
	v_mfma_f32_16x16x32_fp8_fp8 v[8:11], a[48:49], a[16:17], 0 // 00000000B744: D3F30008 1A022130
	v_mfma_f32_16x16x32_fp8_fp8 v[8:11], a[50:51], a[18:19], v[8:11]// 00000000B74C: D3F30008 1C222532
	v_mfma_f32_16x16x32_fp8_fp8 v[8:11], a[52:53], a[20:21], v[8:11]// 00000000B754: D3F30008 1C222934
	v_mfma_f32_16x16x32_fp8_fp8 v[8:11], a[54:55], a[22:23], v[8:11]// 00000000B75C: D3F30008 1C222D36
	v_fma_f32 v140, v12, v6, v140                              // 00000000B764: D1CB008C 06320D0C
	v_fma_f32 v141, v13, v6, v141                              // 00000000B76C: D1CB008D 06360D0D
	v_fma_f32 v142, v14, v6, v142                              // 00000000B774: D1CB008E 063A0D0E
	v_fma_f32 v143, v15, v6, v143                              // 00000000B77C: D1CB008F 063E0D0F
	v_mfma_f32_16x16x32_fp8_fp8 v[12:15], a[56:57], a[16:17], 0// 00000000B784: D3F3000C 1A022138
	v_mfma_f32_16x16x32_fp8_fp8 v[12:15], a[58:59], a[18:19], v[12:15]// 00000000B78C: D3F3000C 1C32253A
	v_mfma_f32_16x16x32_fp8_fp8 v[12:15], a[60:61], a[20:21], v[12:15]// 00000000B794: D3F3000C 1C32293C
	v_mfma_f32_16x16x32_fp8_fp8 v[12:15], a[62:63], a[22:23], v[12:15]// 00000000B79C: D3F3000C 1C322D3E
	v_fma_f32 v108, v8, v4, v108                               // 00000000B7A4: D1CB006C 05B20908
	v_fma_f32 v109, v9, v4, v109                               // 00000000B7AC: D1CB006D 05B60909
	v_fma_f32 v110, v10, v4, v110                              // 00000000B7B4: D1CB006E 05BA090A
	v_fma_f32 v111, v11, v4, v111                              // 00000000B7BC: D1CB006F 05BE090B
	v_mul_f32_dpp v6, v28, v38 row_newbcast:1 row_mask:0xf bank_mask:0xf// 00000000B7C4: 0A0C4CFA FF01511C
	v_mfma_f32_16x16x32_fp8_fp8 v[8:11], a[64:65], a[16:17], 0 // 00000000B7CC: D3F30008 1A022140
	s_add_u32 s60, 0x180, s80                                  // 00000000B7D4: 803C50FF 00000180
	s_cmp_lt_u32 s60, s81                                      // 00000000B7DC: BF0A513C
	s_cselect_b32 s57, s57, 0                                  // 00000000B7E0: 85398039
	s_cselect_b32 s3, s3, 0                                    // 00000000B7E4: 85038003
	v_mfma_f32_16x16x32_fp8_fp8 v[8:11], a[66:67], a[18:19], v[8:11]// 00000000B7E8: D3F30008 1C222542
	s_add_u32 s60, 0x100, s80                                  // 00000000B7F0: 803C50FF 00000100
	s_cmp_lt_u32 s60, s81                                      // 00000000B7F8: BF0A513C
	s_cselect_b32 s58, s58, 0                                  // 00000000B7FC: 853A803A
	v_mfma_f32_16x16x32_fp8_fp8 v[8:11], a[68:69], a[20:21], v[8:11]// 00000000B800: D3F30008 1C222944
	s_add_u32 s60, 0x100, s80                                  // 00000000B808: 803C50FF 00000100
	s_cmp_lt_u32 s60, s81                                      // 00000000B810: BF0A513C
	s_cselect_b32 s83, s83, 0                                  // 00000000B814: 85538053
	s_cselect_b32 s4, s4, 0                                    // 00000000B818: 85048004
	v_mfma_f32_16x16x32_fp8_fp8 v[8:11], a[70:71], a[22:23], v[8:11]// 00000000B81C: D3F30008 1C222D46
	s_add_u32 s24, s58, s24                                    // 00000000B824: 8018183A
	s_addc_u32 s25, 0, s25                                     // 00000000B828: 82191980
	v_fma_f32 v120, v12, v4, v120                              // 00000000B82C: D1CB0078 05E2090C
	v_fma_f32 v121, v13, v4, v121                              // 00000000B834: D1CB0079 05E6090D
	v_fma_f32 v122, v14, v4, v122                              // 00000000B83C: D1CB007A 05EA090E
	v_fma_f32 v123, v15, v4, v123                              // 00000000B844: D1CB007B 05EE090F
	v_mfma_f32_16x16x32_fp8_fp8 v[12:15], a[72:73], a[16:17], 0// 00000000B84C: D3F3000C 1A022148
	s_add_u32 s20, s57, s20                                    // 00000000B854: 80141439
	s_addc_u32 s21, 0, s21                                     // 00000000B858: 82151580
	s_add_u32 s28, s3, s28                                     // 00000000B85C: 801C1C03
	s_addc_u32 s29, 0, s29                                     // 00000000B860: 821D1D80
	v_mfma_f32_16x16x32_fp8_fp8 v[12:15], a[74:75], a[18:19], v[12:15]// 00000000B864: D3F3000C 1C32254A
	s_add_u32 s84, s83, s84                                    // 00000000B86C: 80545453
	s_addc_u32 s85, 0, s85                                     // 00000000B870: 82555580
	v_mfma_f32_16x16x32_fp8_fp8 v[12:15], a[76:77], a[20:21], v[12:15]// 00000000B874: D3F3000C 1C32294C
	s_add_u32 s32, s4, s32                                     // 00000000B87C: 80202004
	s_addc_u32 s33, 0, s33                                     // 00000000B880: 82212180
	v_mfma_f32_16x16x32_fp8_fp8 v[12:15], a[78:79], a[22:23], v[12:15]// 00000000B884: D3F3000C 1C322D4E
	v_fma_f32 v132, v8, v6, v132                               // 00000000B88C: D1CB0084 06120D08
	v_fma_f32 v133, v9, v6, v133                               // 00000000B894: D1CB0085 06160D09
	v_fma_f32 v134, v10, v6, v134                              // 00000000B89C: D1CB0086 061A0D0A
	v_fma_f32 v135, v11, v6, v135                              // 00000000B8A4: D1CB0087 061E0D0B
	v_fma_f32 v144, v12, v6, v144                              // 00000000B8AC: D1CB0090 06420D0C
	v_fma_f32 v145, v13, v6, v145                              // 00000000B8B4: D1CB0091 06460D0D
	v_fma_f32 v146, v14, v6, v146                              // 00000000B8BC: D1CB0092 064A0D0E
	v_fma_f32 v147, v15, v6, v147                              // 00000000B8C4: D1CB0093 064E0D0F
	s_addk_i32 s80, 0x80                                       // 00000000B8CC: B7500080
	s_cmp_lt_i32 s80, s81                                      // 00000000B8D0: BF045150
	s_cbranch_scc0 label_25BD                                  // 00000000B8D4: BF840204
	s_waitcnt vmcnt(18) lgkmcnt(0)                             // 00000000B8D8: BF8C4072
	v_mul_f32_dpp v4, v26, v39 row_newbcast:0 row_mask:0xf bank_mask:0xf// 00000000B8DC: 0A084EFA FF01501A
	v_mfma_f32_16x16x32_fp8_fp8 v[8:11], a[80:81], a[24:25], 0 // 00000000B8E4: D3F30008 1A023150
	buffer_load_dword v24, v22, s[32:35], 0 offen              // 00000000B8EC: E0501000 80081816
	buffer_load_dwordx4 a[48:51], v48, s[24:27], 0 offen       // 00000000B8F4: E05C1000 80863030
	v_mfma_f32_16x16x32_fp8_fp8 v[8:11], a[82:83], a[26:27], v[8:11]// 00000000B8FC: D3F30008 1C223552
	v_mfma_f32_16x16x32_fp8_fp8 v[8:11], a[84:85], a[28:29], v[8:11]// 00000000B904: D3F30008 1C223954
	v_mfma_f32_16x16x32_fp8_fp8 v[8:11], a[86:87], a[30:31], v[8:11]// 00000000B90C: D3F30008 1C223D56
	v_mfma_f32_16x16x32_fp8_fp8 v[12:15], a[88:89], a[24:25], 0// 00000000B914: D3F3000C 1A023158
	buffer_load_dwordx4 a[52:55], v48, s[24:27], 0 offen offset:1024// 00000000B91C: E05C1400 80863430
	v_mfma_f32_16x16x32_fp8_fp8 v[12:15], a[90:91], a[26:27], v[12:15]// 00000000B924: D3F3000C 1C32355A
	v_mfma_f32_16x16x32_fp8_fp8 v[12:15], a[92:93], a[28:29], v[12:15]// 00000000B92C: D3F3000C 1C32395C
	v_mfma_f32_16x16x32_fp8_fp8 v[12:15], a[94:95], a[30:31], v[12:15]// 00000000B934: D3F3000C 1C323D5E
	v_fma_f32 v52, v8, v4, v52                                 // 00000000B93C: D1CB0034 04D20908
	v_fma_f32 v53, v9, v4, v53                                 // 00000000B944: D1CB0035 04D60909
	v_fma_f32 v54, v10, v4, v54                                // 00000000B94C: D1CB0036 04DA090A
	v_fma_f32 v55, v11, v4, v55                                // 00000000B954: D1CB0037 04DE090B
	v_mul_f32_dpp v6, v26, v39 row_newbcast:1 row_mask:0xf bank_mask:0xf// 00000000B95C: 0A0C4EFA FF01511A
	v_mfma_f32_16x16x32_fp8_fp8 v[8:11], a[96:97], a[24:25], 0 // 00000000B964: D3F30008 1A023160
	buffer_load_dwordx4 a[56:59], v49, s[24:27], 0 offen       // 00000000B96C: E05C1000 80863831
	v_mfma_f32_16x16x32_fp8_fp8 v[8:11], a[98:99], a[26:27], v[8:11]// 00000000B974: D3F30008 1C223562
	v_mfma_f32_16x16x32_fp8_fp8 v[8:11], a[100:101], a[28:29], v[8:11]// 00000000B97C: D3F30008 1C223964
	v_mfma_f32_16x16x32_fp8_fp8 v[8:11], a[102:103], a[30:31], v[8:11]// 00000000B984: D3F30008 1C223D66
	v_fma_f32 v64, v12, v4, v64                                // 00000000B98C: D1CB0040 0502090C
	v_fma_f32 v65, v13, v4, v65                                // 00000000B994: D1CB0041 0506090D
	v_fma_f32 v66, v14, v4, v66                                // 00000000B99C: D1CB0042 050A090E
	v_fma_f32 v67, v15, v4, v67                                // 00000000B9A4: D1CB0043 050E090F
	v_mfma_f32_16x16x32_fp8_fp8 v[12:15], a[104:105], a[24:25], 0// 00000000B9AC: D3F3000C 1A023168
	buffer_load_dwordx4 a[60:63], v49, s[24:27], 0 offen offset:1024// 00000000B9B4: E05C1400 80863C31
	v_mfma_f32_16x16x32_fp8_fp8 v[12:15], a[106:107], a[26:27], v[12:15]// 00000000B9BC: D3F3000C 1C32356A
	v_mfma_f32_16x16x32_fp8_fp8 v[12:15], a[108:109], a[28:29], v[12:15]// 00000000B9C4: D3F3000C 1C32396C
	v_mfma_f32_16x16x32_fp8_fp8 v[12:15], a[110:111], a[30:31], v[12:15]// 00000000B9CC: D3F3000C 1C323D6E
	v_fma_f32 v76, v8, v6, v76                                 // 00000000B9D4: D1CB004C 05320D08
	v_fma_f32 v77, v9, v6, v77                                 // 00000000B9DC: D1CB004D 05360D09
	v_fma_f32 v78, v10, v6, v78                                // 00000000B9E4: D1CB004E 053A0D0A
	v_fma_f32 v79, v11, v6, v79                                // 00000000B9EC: D1CB004F 053E0D0B
	v_mul_f32_dpp v4, v26, v40 row_newbcast:0 row_mask:0xf bank_mask:0xf// 00000000B9F4: 0A0850FA FF01501A
	v_mfma_f32_16x16x32_fp8_fp8 v[8:11], a[80:81], a[32:33], 0 // 00000000B9FC: D3F30008 1A024150
	buffer_load_dwordx4 a[64:67], v50, s[24:27], 0 offen       // 00000000BA04: E05C1000 80864032
	v_mfma_f32_16x16x32_fp8_fp8 v[8:11], a[82:83], a[34:35], v[8:11]// 00000000BA0C: D3F30008 1C224552
	v_mfma_f32_16x16x32_fp8_fp8 v[8:11], a[84:85], a[36:37], v[8:11]// 00000000BA14: D3F30008 1C224954
	v_mfma_f32_16x16x32_fp8_fp8 v[8:11], a[86:87], a[38:39], v[8:11]// 00000000BA1C: D3F30008 1C224D56
	v_fma_f32 v88, v12, v6, v88                                // 00000000BA24: D1CB0058 05620D0C
	v_fma_f32 v89, v13, v6, v89                                // 00000000BA2C: D1CB0059 05660D0D
	v_fma_f32 v90, v14, v6, v90                                // 00000000BA34: D1CB005A 056A0D0E
	v_fma_f32 v91, v15, v6, v91                                // 00000000BA3C: D1CB005B 056E0D0F
	v_mfma_f32_16x16x32_fp8_fp8 v[12:15], a[88:89], a[32:33], 0// 00000000BA44: D3F3000C 1A024158
	buffer_load_dwordx4 a[68:71], v50, s[24:27], 0 offen offset:1024// 00000000BA4C: E05C1400 80864432
	v_mfma_f32_16x16x32_fp8_fp8 v[12:15], a[90:91], a[34:35], v[12:15]// 00000000BA54: D3F3000C 1C32455A
	v_mfma_f32_16x16x32_fp8_fp8 v[12:15], a[92:93], a[36:37], v[12:15]// 00000000BA5C: D3F3000C 1C32495C
	v_mfma_f32_16x16x32_fp8_fp8 v[12:15], a[94:95], a[38:39], v[12:15]// 00000000BA64: D3F3000C 1C324D5E
	v_fma_f32 v56, v8, v4, v56                                 // 00000000BA6C: D1CB0038 04E20908
	v_fma_f32 v57, v9, v4, v57                                 // 00000000BA74: D1CB0039 04E60909
	v_fma_f32 v58, v10, v4, v58                                // 00000000BA7C: D1CB003A 04EA090A
	v_fma_f32 v59, v11, v4, v59                                // 00000000BA84: D1CB003B 04EE090B
	v_mul_f32_dpp v6, v26, v40 row_newbcast:1 row_mask:0xf bank_mask:0xf// 00000000BA8C: 0A0C50FA FF01511A
	v_mfma_f32_16x16x32_fp8_fp8 v[8:11], a[96:97], a[32:33], 0 // 00000000BA94: D3F30008 1A024160
	buffer_load_dwordx4 a[72:75], v51, s[24:27], 0 offen       // 00000000BA9C: E05C1000 80864833
	v_mfma_f32_16x16x32_fp8_fp8 v[8:11], a[98:99], a[34:35], v[8:11]// 00000000BAA4: D3F30008 1C224562
	v_mfma_f32_16x16x32_fp8_fp8 v[8:11], a[100:101], a[36:37], v[8:11]// 00000000BAAC: D3F30008 1C224964
	v_mfma_f32_16x16x32_fp8_fp8 v[8:11], a[102:103], a[38:39], v[8:11]// 00000000BAB4: D3F30008 1C224D66
	v_fma_f32 v68, v12, v4, v68                                // 00000000BABC: D1CB0044 0512090C
	v_fma_f32 v69, v13, v4, v69                                // 00000000BAC4: D1CB0045 0516090D
	v_fma_f32 v70, v14, v4, v70                                // 00000000BACC: D1CB0046 051A090E
	v_fma_f32 v71, v15, v4, v71                                // 00000000BAD4: D1CB0047 051E090F
	v_mfma_f32_16x16x32_fp8_fp8 v[12:15], a[104:105], a[32:33], 0// 00000000BADC: D3F3000C 1A024168
	buffer_load_dwordx4 a[76:79], v51, s[24:27], 0 offen offset:1024// 00000000BAE4: E05C1400 80864C33
	buffer_load_dword v42, s[20:23], 0 offen lds               // 00000000BAEC: E0511000 8005002A
	s_add_u32 m0, 0x100, s49                                   // 00000000BAF4: 807C31FF 00000100
	v_mfma_f32_16x16x32_fp8_fp8 v[12:15], a[106:107], a[34:35], v[12:15]// 00000000BAFC: D3F3000C 1C32456A
	v_mfma_f32_16x16x32_fp8_fp8 v[12:15], a[108:109], a[36:37], v[12:15]// 00000000BB04: D3F3000C 1C32496C
	buffer_load_dword v43, s[20:23], 0 offen lds               // 00000000BB0C: E0511000 8005002B
	s_add_u32 m0, 0x200, s49                                   // 00000000BB14: 807C31FF 00000200
	v_mfma_f32_16x16x32_fp8_fp8 v[12:15], a[110:111], a[38:39], v[12:15]// 00000000BB1C: D3F3000C 1C324D6E
	v_fma_f32 v80, v8, v6, v80                                 // 00000000BB24: D1CB0050 05420D08
	v_fma_f32 v81, v9, v6, v81                                 // 00000000BB2C: D1CB0051 05460D09
	v_fma_f32 v82, v10, v6, v82                                // 00000000BB34: D1CB0052 054A0D0A
	v_fma_f32 v83, v11, v6, v83                                // 00000000BB3C: D1CB0053 054E0D0B
	v_mul_f32_dpp v4, v26, v41 row_newbcast:0 row_mask:0xf bank_mask:0xf// 00000000BB44: 0A0852FA FF01501A
	v_mfma_f32_16x16x32_fp8_fp8 v[8:11], a[80:81], a[40:41], 0 // 00000000BB4C: D3F30008 1A025150
	buffer_load_dword v44, s[20:23], 0 offen lds               // 00000000BB54: E0511000 8005002C
	s_add_u32 m0, 0x300, s49                                   // 00000000BB5C: 807C31FF 00000300
	v_mfma_f32_16x16x32_fp8_fp8 v[8:11], a[82:83], a[42:43], v[8:11]// 00000000BB64: D3F30008 1C225552
	v_mfma_f32_16x16x32_fp8_fp8 v[8:11], a[84:85], a[44:45], v[8:11]// 00000000BB6C: D3F30008 1C225954
	buffer_load_dword v45, s[20:23], 0 offen lds               // 00000000BB74: E0511000 8005002D
	s_add_u32 m0, 0x400, s49                                   // 00000000BB7C: 807C31FF 00000400
	v_mfma_f32_16x16x32_fp8_fp8 v[8:11], a[86:87], a[46:47], v[8:11]// 00000000BB84: D3F30008 1C225D56
	v_fma_f32 v92, v12, v6, v92                                // 00000000BB8C: D1CB005C 05720D0C
	v_fma_f32 v93, v13, v6, v93                                // 00000000BB94: D1CB005D 05760D0D
	v_fma_f32 v94, v14, v6, v94                                // 00000000BB9C: D1CB005E 057A0D0E
	v_fma_f32 v95, v15, v6, v95                                // 00000000BBA4: D1CB005F 057E0D0F
	v_mfma_f32_16x16x32_fp8_fp8 v[12:15], a[88:89], a[40:41], 0// 00000000BBAC: D3F3000C 1A025158
	buffer_load_dword v46, s[20:23], 0 offen lds               // 00000000BBB4: E0511000 8005002E
	s_add_u32 m0, 0x500, s49                                   // 00000000BBBC: 807C31FF 00000500
	v_mfma_f32_16x16x32_fp8_fp8 v[12:15], a[90:91], a[42:43], v[12:15]// 00000000BBC4: D3F3000C 1C32555A
	v_mfma_f32_16x16x32_fp8_fp8 v[12:15], a[92:93], a[44:45], v[12:15]// 00000000BBCC: D3F3000C 1C32595C
	buffer_load_dword v47, s[20:23], 0 offen lds               // 00000000BBD4: E0511000 8005002F
	s_add_u32 m0, 0, s50                                       // 00000000BBDC: 807C3280
	v_mfma_f32_16x16x32_fp8_fp8 v[12:15], a[94:95], a[46:47], v[12:15]// 00000000BBE0: D3F3000C 1C325D5E
	v_fma_f32 v60, v8, v4, v60                                 // 00000000BBE8: D1CB003C 04F20908
	v_fma_f32 v61, v9, v4, v61                                 // 00000000BBF0: D1CB003D 04F60909
	v_fma_f32 v62, v10, v4, v62                                // 00000000BBF8: D1CB003E 04FA090A
	v_fma_f32 v63, v11, v4, v63                                // 00000000BC00: D1CB003F 04FE090B
	v_mul_f32_dpp v6, v26, v41 row_newbcast:1 row_mask:0xf bank_mask:0xf// 00000000BC08: 0A0C52FA FF01511A
	v_mfma_f32_16x16x32_fp8_fp8 v[8:11], a[96:97], a[40:41], 0 // 00000000BC10: D3F30008 1A025160
	buffer_load_dword v36, v30, s[28:31], 0 offen              // 00000000BC18: E0501000 8007241E
	v_mfma_f32_16x16x32_fp8_fp8 v[8:11], a[98:99], a[42:43], v[8:11]// 00000000BC20: D3F30008 1C225562
	v_mfma_f32_16x16x32_fp8_fp8 v[8:11], a[100:101], a[44:45], v[8:11]// 00000000BC28: D3F30008 1C225964
	buffer_load_dword v37, v31, s[28:31], 0 offen              // 00000000BC30: E0501000 8007251F
	v_mfma_f32_16x16x32_fp8_fp8 v[8:11], a[102:103], a[46:47], v[8:11]// 00000000BC38: D3F30008 1C225D66
	v_fma_f32 v72, v12, v4, v72                                // 00000000BC40: D1CB0048 0522090C
	v_fma_f32 v73, v13, v4, v73                                // 00000000BC48: D1CB0049 0526090D
	v_fma_f32 v74, v14, v4, v74                                // 00000000BC50: D1CB004A 052A090E
	v_fma_f32 v75, v15, v4, v75                                // 00000000BC58: D1CB004B 052E090F
	v_mfma_f32_16x16x32_fp8_fp8 v[12:15], a[104:105], a[40:41], 0// 00000000BC60: D3F3000C 1A025168
	buffer_load_dword v38, v32, s[28:31], 0 offen              // 00000000BC68: E0501000 80072620
	v_mfma_f32_16x16x32_fp8_fp8 v[12:15], a[106:107], a[42:43], v[12:15]// 00000000BC70: D3F3000C 1C32556A
	v_mfma_f32_16x16x32_fp8_fp8 v[12:15], a[108:109], a[44:45], v[12:15]// 00000000BC78: D3F3000C 1C32596C
	v_mfma_f32_16x16x32_fp8_fp8 v[12:15], a[110:111], a[46:47], v[12:15]// 00000000BC80: D3F3000C 1C325D6E
	v_fma_f32 v84, v8, v6, v84                                 // 00000000BC88: D1CB0054 05520D08
	v_fma_f32 v85, v9, v6, v85                                 // 00000000BC90: D1CB0055 05560D09
	v_fma_f32 v86, v10, v6, v86                                // 00000000BC98: D1CB0056 055A0D0A
	v_fma_f32 v87, v11, v6, v87                                // 00000000BCA0: D1CB0057 055E0D0B
	v_fma_f32 v96, v12, v6, v96                                // 00000000BCA8: D1CB0060 05820D0C
	v_fma_f32 v97, v13, v6, v97                                // 00000000BCB0: D1CB0061 05860D0D
	v_fma_f32 v98, v14, v6, v98                                // 00000000BCB8: D1CB0062 058A0D0E
	v_fma_f32 v99, v15, v6, v99                                // 00000000BCC0: D1CB0063 058E0D0F
	s_waitcnt vmcnt(18)                                        // 00000000BCC8: BF8C4F72
	s_barrier                                                  // 00000000BCCC: BF8A0000
	v_mul_f32_dpp v4, v29, v39 row_newbcast:0 row_mask:0xf bank_mask:0xf// 00000000BCD0: 0A084EFA FF01501D
	v_mfma_f32_16x16x32_fp8_fp8 v[8:11], a[112:113], a[24:25], 0// 00000000BCD8: D3F30008 1A023170
	buffer_load_dword v27, v23, s[32:35], 0 offen              // 00000000BCE0: E0501000 80081B17
	buffer_load_dwordx4 a[80:83], v48, s[84:87], 0 offen       // 00000000BCE8: E05C1000 80955030
	v_mfma_f32_16x16x32_fp8_fp8 v[8:11], a[114:115], a[26:27], v[8:11]// 00000000BCF0: D3F30008 1C223572
	v_mfma_f32_16x16x32_fp8_fp8 v[8:11], a[116:117], a[28:29], v[8:11]// 00000000BCF8: D3F30008 1C223974
	ds_read_b128 a[0:3], v2                                    // 00000000BD00: DBFE0000 00000002
	ds_read_b128 a[4:7], v2 offset:64                          // 00000000BD08: DBFE0040 04000002
	v_mfma_f32_16x16x32_fp8_fp8 v[8:11], a[118:119], a[30:31], v[8:11]// 00000000BD10: D3F30008 1C223D76
	v_mfma_f32_16x16x32_fp8_fp8 v[12:15], a[120:121], a[24:25], 0// 00000000BD18: D3F3000C 1A023178
	buffer_load_dwordx4 a[84:87], v48, s[84:87], 0 offen offset:1024// 00000000BD20: E05C1400 80955430
	v_mfma_f32_16x16x32_fp8_fp8 v[12:15], a[122:123], a[26:27], v[12:15]// 00000000BD28: D3F3000C 1C32357A
	v_mfma_f32_16x16x32_fp8_fp8 v[12:15], a[124:125], a[28:29], v[12:15]// 00000000BD30: D3F3000C 1C32397C
	ds_read_b128 a[8:11], v2 offset:512                        // 00000000BD38: DBFE0200 08000002
	ds_read_b128 a[12:15], v2 offset:576                       // 00000000BD40: DBFE0240 0C000002
	v_mfma_f32_16x16x32_fp8_fp8 v[12:15], a[126:127], a[30:31], v[12:15]// 00000000BD48: D3F3000C 1C323D7E
	v_fma_f32 v100, v8, v4, v100                               // 00000000BD50: D1CB0064 05920908
	v_fma_f32 v101, v9, v4, v101                               // 00000000BD58: D1CB0065 05960909
	v_fma_f32 v102, v10, v4, v102                              // 00000000BD60: D1CB0066 059A090A
	v_fma_f32 v103, v11, v4, v103                              // 00000000BD68: D1CB0067 059E090B
	v_mul_f32_dpp v6, v29, v39 row_newbcast:1 row_mask:0xf bank_mask:0xf// 00000000BD70: 0A0C4EFA FF01511D
	v_mfma_f32_16x16x32_fp8_fp8 v[8:11], a[128:129], a[24:25], 0// 00000000BD78: D3F30008 1A023180
	buffer_load_dwordx4 a[88:91], v49, s[84:87], 0 offen       // 00000000BD80: E05C1000 80955831
	v_mfma_f32_16x16x32_fp8_fp8 v[8:11], a[130:131], a[26:27], v[8:11]// 00000000BD88: D3F30008 1C223582
	v_mfma_f32_16x16x32_fp8_fp8 v[8:11], a[132:133], a[28:29], v[8:11]// 00000000BD90: D3F30008 1C223984
	ds_read_b128 a[16:19], v2 offset:1024                      // 00000000BD98: DBFE0400 10000002
	ds_read_b128 a[20:23], v2 offset:1088                      // 00000000BDA0: DBFE0440 14000002
	v_mfma_f32_16x16x32_fp8_fp8 v[8:11], a[134:135], a[30:31], v[8:11]// 00000000BDA8: D3F30008 1C223D86
	v_fma_f32 v112, v12, v4, v112                              // 00000000BDB0: D1CB0070 05C2090C
	v_fma_f32 v113, v13, v4, v113                              // 00000000BDB8: D1CB0071 05C6090D
	v_fma_f32 v114, v14, v4, v114                              // 00000000BDC0: D1CB0072 05CA090E
	v_fma_f32 v115, v15, v4, v115                              // 00000000BDC8: D1CB0073 05CE090F
	v_mfma_f32_16x16x32_fp8_fp8 v[12:15], a[136:137], a[24:25], 0// 00000000BDD0: D3F3000C 1A023188
	buffer_load_dwordx4 a[92:95], v49, s[84:87], 0 offen offset:1024// 00000000BDD8: E05C1400 80955C31
	v_mfma_f32_16x16x32_fp8_fp8 v[12:15], a[138:139], a[26:27], v[12:15]// 00000000BDE0: D3F3000C 1C32358A
	v_mfma_f32_16x16x32_fp8_fp8 v[12:15], a[140:141], a[28:29], v[12:15]// 00000000BDE8: D3F3000C 1C32398C
	v_mfma_f32_16x16x32_fp8_fp8 v[12:15], a[142:143], a[30:31], v[12:15]// 00000000BDF0: D3F3000C 1C323D8E
	v_fma_f32 v124, v8, v6, v124                               // 00000000BDF8: D1CB007C 05F20D08
	v_fma_f32 v125, v9, v6, v125                               // 00000000BE00: D1CB007D 05F60D09
	v_fma_f32 v126, v10, v6, v126                              // 00000000BE08: D1CB007E 05FA0D0A
	v_fma_f32 v127, v11, v6, v127                              // 00000000BE10: D1CB007F 05FE0D0B
	v_mul_f32_dpp v4, v29, v40 row_newbcast:0 row_mask:0xf bank_mask:0xf// 00000000BE18: 0A0850FA FF01501D
	v_mfma_f32_16x16x32_fp8_fp8 v[8:11], a[112:113], a[32:33], 0// 00000000BE20: D3F30008 1A024170
	buffer_load_dwordx4 a[96:99], v50, s[84:87], 0 offen       // 00000000BE28: E05C1000 80956032
	v_mfma_f32_16x16x32_fp8_fp8 v[8:11], a[114:115], a[34:35], v[8:11]// 00000000BE30: D3F30008 1C224572
	v_mfma_f32_16x16x32_fp8_fp8 v[8:11], a[116:117], a[36:37], v[8:11]// 00000000BE38: D3F30008 1C224974
	v_mfma_f32_16x16x32_fp8_fp8 v[8:11], a[118:119], a[38:39], v[8:11]// 00000000BE40: D3F30008 1C224D76
	v_fma_f32 v136, v12, v6, v136                              // 00000000BE48: D1CB0088 06220D0C
	v_fma_f32 v137, v13, v6, v137                              // 00000000BE50: D1CB0089 06260D0D
	v_fma_f32 v138, v14, v6, v138                              // 00000000BE58: D1CB008A 062A0D0E
	v_fma_f32 v139, v15, v6, v139                              // 00000000BE60: D1CB008B 062E0D0F
	v_mfma_f32_16x16x32_fp8_fp8 v[12:15], a[120:121], a[32:33], 0// 00000000BE68: D3F3000C 1A024178
	buffer_load_dwordx4 a[100:103], v50, s[84:87], 0 offen offset:1024// 00000000BE70: E05C1400 80956432
	v_mfma_f32_16x16x32_fp8_fp8 v[12:15], a[122:123], a[34:35], v[12:15]// 00000000BE78: D3F3000C 1C32457A
	v_mfma_f32_16x16x32_fp8_fp8 v[12:15], a[124:125], a[36:37], v[12:15]// 00000000BE80: D3F3000C 1C32497C
	v_mfma_f32_16x16x32_fp8_fp8 v[12:15], a[126:127], a[38:39], v[12:15]// 00000000BE88: D3F3000C 1C324D7E
	v_fma_f32 v104, v8, v4, v104                               // 00000000BE90: D1CB0068 05A20908
	v_fma_f32 v105, v9, v4, v105                               // 00000000BE98: D1CB0069 05A60909
	v_fma_f32 v106, v10, v4, v106                              // 00000000BEA0: D1CB006A 05AA090A
	v_fma_f32 v107, v11, v4, v107                              // 00000000BEA8: D1CB006B 05AE090B
	v_mul_f32_dpp v6, v29, v40 row_newbcast:1 row_mask:0xf bank_mask:0xf// 00000000BEB0: 0A0C50FA FF01511D
	v_mfma_f32_16x16x32_fp8_fp8 v[8:11], a[128:129], a[32:33], 0// 00000000BEB8: D3F30008 1A024180
	buffer_load_dwordx4 a[104:107], v51, s[84:87], 0 offen     // 00000000BEC0: E05C1000 80956833
	v_mfma_f32_16x16x32_fp8_fp8 v[8:11], a[130:131], a[34:35], v[8:11]// 00000000BEC8: D3F30008 1C224582
	v_mfma_f32_16x16x32_fp8_fp8 v[8:11], a[132:133], a[36:37], v[8:11]// 00000000BED0: D3F30008 1C224984
	v_mfma_f32_16x16x32_fp8_fp8 v[8:11], a[134:135], a[38:39], v[8:11]// 00000000BED8: D3F30008 1C224D86
	v_fma_f32 v116, v12, v4, v116                              // 00000000BEE0: D1CB0074 05D2090C
	v_fma_f32 v117, v13, v4, v117                              // 00000000BEE8: D1CB0075 05D6090D
	v_fma_f32 v118, v14, v4, v118                              // 00000000BEF0: D1CB0076 05DA090E
	v_fma_f32 v119, v15, v4, v119                              // 00000000BEF8: D1CB0077 05DE090F
	v_mfma_f32_16x16x32_fp8_fp8 v[12:15], a[136:137], a[32:33], 0// 00000000BF00: D3F3000C 1A024188
	buffer_load_dwordx4 a[108:111], v51, s[84:87], 0 offen offset:1024// 00000000BF08: E05C1400 80956C33
	v_mfma_f32_16x16x32_fp8_fp8 v[12:15], a[138:139], a[34:35], v[12:15]// 00000000BF10: D3F3000C 1C32458A
	v_mfma_f32_16x16x32_fp8_fp8 v[12:15], a[140:141], a[36:37], v[12:15]// 00000000BF18: D3F3000C 1C32498C
	v_mfma_f32_16x16x32_fp8_fp8 v[12:15], a[142:143], a[38:39], v[12:15]// 00000000BF20: D3F3000C 1C324D8E
	v_fma_f32 v128, v8, v6, v128                               // 00000000BF28: D1CB0080 06020D08
	v_fma_f32 v129, v9, v6, v129                               // 00000000BF30: D1CB0081 06060D09
	v_fma_f32 v130, v10, v6, v130                              // 00000000BF38: D1CB0082 060A0D0A
	v_fma_f32 v131, v11, v6, v131                              // 00000000BF40: D1CB0083 060E0D0B
	v_mul_f32_dpp v4, v29, v41 row_newbcast:0 row_mask:0xf bank_mask:0xf// 00000000BF48: 0A0852FA FF01501D
	v_mfma_f32_16x16x32_fp8_fp8 v[8:11], a[112:113], a[40:41], 0// 00000000BF50: D3F30008 1A025170
	v_mfma_f32_16x16x32_fp8_fp8 v[8:11], a[114:115], a[42:43], v[8:11]// 00000000BF58: D3F30008 1C225572
	v_mfma_f32_16x16x32_fp8_fp8 v[8:11], a[116:117], a[44:45], v[8:11]// 00000000BF60: D3F30008 1C225974
	v_mfma_f32_16x16x32_fp8_fp8 v[8:11], a[118:119], a[46:47], v[8:11]// 00000000BF68: D3F30008 1C225D76
	v_fma_f32 v140, v12, v6, v140                              // 00000000BF70: D1CB008C 06320D0C
	v_fma_f32 v141, v13, v6, v141                              // 00000000BF78: D1CB008D 06360D0D
	v_fma_f32 v142, v14, v6, v142                              // 00000000BF80: D1CB008E 063A0D0E
	v_fma_f32 v143, v15, v6, v143                              // 00000000BF88: D1CB008F 063E0D0F
	v_mfma_f32_16x16x32_fp8_fp8 v[12:15], a[120:121], a[40:41], 0// 00000000BF90: D3F3000C 1A025178
	v_mfma_f32_16x16x32_fp8_fp8 v[12:15], a[122:123], a[42:43], v[12:15]// 00000000BF98: D3F3000C 1C32557A
	v_mfma_f32_16x16x32_fp8_fp8 v[12:15], a[124:125], a[44:45], v[12:15]// 00000000BFA0: D3F3000C 1C32597C
	v_mfma_f32_16x16x32_fp8_fp8 v[12:15], a[126:127], a[46:47], v[12:15]// 00000000BFA8: D3F3000C 1C325D7E
	v_fma_f32 v108, v8, v4, v108                               // 00000000BFB0: D1CB006C 05B20908
	v_fma_f32 v109, v9, v4, v109                               // 00000000BFB8: D1CB006D 05B60909
	v_fma_f32 v110, v10, v4, v110                              // 00000000BFC0: D1CB006E 05BA090A
	v_fma_f32 v111, v11, v4, v111                              // 00000000BFC8: D1CB006F 05BE090B
	v_mul_f32_dpp v6, v29, v41 row_newbcast:1 row_mask:0xf bank_mask:0xf// 00000000BFD0: 0A0C52FA FF01511D
	v_mfma_f32_16x16x32_fp8_fp8 v[8:11], a[128:129], a[40:41], 0// 00000000BFD8: D3F30008 1A025180
	s_add_u32 s60, 0x180, s80                                  // 00000000BFE0: 803C50FF 00000180
	s_cmp_lt_u32 s60, s81                                      // 00000000BFE8: BF0A513C
	s_cselect_b32 s57, s57, 0                                  // 00000000BFEC: 85398039
	s_cselect_b32 s3, s3, 0                                    // 00000000BFF0: 85038003
	v_mfma_f32_16x16x32_fp8_fp8 v[8:11], a[130:131], a[42:43], v[8:11]// 00000000BFF4: D3F30008 1C225582
	s_add_u32 s60, 0x100, s80                                  // 00000000BFFC: 803C50FF 00000100
	s_cmp_lt_u32 s60, s81                                      // 00000000C004: BF0A513C
	s_cselect_b32 s58, s58, 0                                  // 00000000C008: 853A803A
	v_mfma_f32_16x16x32_fp8_fp8 v[8:11], a[132:133], a[44:45], v[8:11]// 00000000C00C: D3F30008 1C225984
	s_add_u32 s60, 0x100, s80                                  // 00000000C014: 803C50FF 00000100
	s_cmp_lt_u32 s60, s81                                      // 00000000C01C: BF0A513C
	s_cselect_b32 s83, s83, 0                                  // 00000000C020: 85538053
	s_cselect_b32 s4, s4, 0                                    // 00000000C024: 85048004
	v_mfma_f32_16x16x32_fp8_fp8 v[8:11], a[134:135], a[46:47], v[8:11]// 00000000C028: D3F30008 1C225D86
	s_add_u32 s24, s58, s24                                    // 00000000C030: 8018183A
	s_addc_u32 s25, 0, s25                                     // 00000000C034: 82191980
	v_fma_f32 v120, v12, v4, v120                              // 00000000C038: D1CB0078 05E2090C
	v_fma_f32 v121, v13, v4, v121                              // 00000000C040: D1CB0079 05E6090D
	v_fma_f32 v122, v14, v4, v122                              // 00000000C048: D1CB007A 05EA090E
	v_fma_f32 v123, v15, v4, v123                              // 00000000C050: D1CB007B 05EE090F
	v_mfma_f32_16x16x32_fp8_fp8 v[12:15], a[136:137], a[40:41], 0// 00000000C058: D3F3000C 1A025188
	s_add_u32 s20, s57, s20                                    // 00000000C060: 80141439
	s_addc_u32 s21, 0, s21                                     // 00000000C064: 82151580
	s_add_u32 s28, s3, s28                                     // 00000000C068: 801C1C03
	s_addc_u32 s29, 0, s29                                     // 00000000C06C: 821D1D80
	v_mfma_f32_16x16x32_fp8_fp8 v[12:15], a[138:139], a[42:43], v[12:15]// 00000000C070: D3F3000C 1C32558A
	s_add_u32 s84, s83, s84                                    // 00000000C078: 80545453
	s_addc_u32 s85, 0, s85                                     // 00000000C07C: 82555580
	v_mfma_f32_16x16x32_fp8_fp8 v[12:15], a[140:141], a[44:45], v[12:15]// 00000000C080: D3F3000C 1C32598C
	s_add_u32 s32, s4, s32                                     // 00000000C088: 80202004
	s_addc_u32 s33, 0, s33                                     // 00000000C08C: 82212180
	v_mfma_f32_16x16x32_fp8_fp8 v[12:15], a[142:143], a[46:47], v[12:15]// 00000000C090: D3F3000C 1C325D8E
	v_fma_f32 v132, v8, v6, v132                               // 00000000C098: D1CB0084 06120D08
	v_fma_f32 v133, v9, v6, v133                               // 00000000C0A0: D1CB0085 06160D09
	v_fma_f32 v134, v10, v6, v134                              // 00000000C0A8: D1CB0086 061A0D0A
	v_fma_f32 v135, v11, v6, v135                              // 00000000C0B0: D1CB0087 061E0D0B
	v_fma_f32 v144, v12, v6, v144                              // 00000000C0B8: D1CB0090 06420D0C
	v_fma_f32 v145, v13, v6, v145                              // 00000000C0C0: D1CB0091 06460D0D
	v_fma_f32 v146, v14, v6, v146                              // 00000000C0C8: D1CB0092 064A0D0E
	v_fma_f32 v147, v15, v6, v147                              // 00000000C0D0: D1CB0093 064E0D0F
	s_addk_i32 s80, 0x80                                       // 00000000C0D8: B7500080
	s_cmp_lt_i32 s80, s81                                      // 00000000C0DC: BF045150
	s_cbranch_scc0 label_25BD                                  // 00000000C0E0: BF840001
	s_branch label_19AA                                        // 00000000C0E4: BF82F3ED

000000000000c0e8 <label_25BD>:
	s_cmp_eq_u32 s88, 0                                        // 00000000C0E8: BF068058
	s_cbranch_scc0 label_2CD0                                  // 00000000C0EC: BF840711
	s_cmp_eq_u32 s89, 0                                        // 00000000C0F0: BF068059
	s_cbranch_scc1 label_27A6                                  // 00000000C0F4: BF8501E5
	v_mov_b32_e32 v8, v1                                       // 00000000C0F8: 7E100301
	v_mov_b32_e32 v9, v1                                       // 00000000C0FC: 7E120301
	s_mov_b32 s60, s6                                          // 00000000C100: BEBC0006
	s_mov_b32 s61, s6                                          // 00000000C104: BEBD0006
	v_pk_mul_f32 v[4:5], v[52:53], v[52:53]                    // 00000000C108: D3B14004 18026934
	v_pk_mul_f32 v[6:7], v[54:55], v[54:55]                    // 00000000C110: D3B14006 18026D36
	v_pk_fma_f32 v[4:5], v[4:5], s[78:79], v[8:9]              // 00000000C118: D3B04004 1C209D04
	v_pk_fma_f32 v[6:7], v[6:7], s[78:79], v[8:9]              // 00000000C120: D3B04006 1C209D06
	v_pk_mul_f32 v[4:5], v[4:5], v[52:53]                      // 00000000C128: D3B14004 18026904
	v_pk_mul_f32 v[6:7], v[6:7], v[54:55]                      // 00000000C130: D3B14006 18026D06
	v_pk_mul_f32 v[4:5], v[4:5], s[60:61]                      // 00000000C138: D3B14004 18007904
	v_pk_mul_f32 v[6:7], v[6:7], s[60:61]                      // 00000000C140: D3B14006 18007906
	v_exp_f32_e32 v4, v4                                       // 00000000C148: 7E084104
	v_exp_f32_e32 v5, v5                                       // 00000000C14C: 7E0A4105
	v_exp_f32_e32 v6, v6                                       // 00000000C150: 7E0C4106
	v_exp_f32_e32 v7, v7                                       // 00000000C154: 7E0E4107
	v_add_f32_e64 v4, v4, 1.0                                  // 00000000C158: D1010004 0001E504
	v_add_f32_e64 v5, v5, 1.0                                  // 00000000C160: D1010005 0001E505
	v_add_f32_e64 v6, v6, 1.0                                  // 00000000C168: D1010006 0001E506
	v_add_f32_e64 v7, v7, 1.0                                  // 00000000C170: D1010007 0001E507
	v_rcp_f32_e32 v4, v4                                       // 00000000C178: 7E084504
	v_rcp_f32_e32 v5, v5                                       // 00000000C17C: 7E0A4505
	v_rcp_f32_e32 v6, v6                                       // 00000000C180: 7E0C4506
	v_rcp_f32_e32 v7, v7                                       // 00000000C184: 7E0E4507
	v_mul_f32_e32 v52, v52, v4                                 // 00000000C188: 0A680934
	v_mul_f32_e32 v53, v53, v5                                 // 00000000C18C: 0A6A0B35
	v_mul_f32_e32 v54, v54, v6                                 // 00000000C190: 0A6C0D36
	v_mul_f32_e32 v55, v55, v7                                 // 00000000C194: 0A6E0F37
	v_mul_f32_e32 v52, v52, v100                               // 00000000C198: 0A68C934
	v_mul_f32_e32 v53, v53, v101                               // 00000000C19C: 0A6ACB35
	v_mul_f32_e32 v54, v54, v102                               // 00000000C1A0: 0A6CCD36
	v_mul_f32_e32 v55, v55, v103                               // 00000000C1A4: 0A6ECF37
	v_pk_mul_f32 v[4:5], v[56:57], v[56:57]                    // 00000000C1A8: D3B14004 18027138
	v_pk_mul_f32 v[6:7], v[58:59], v[58:59]                    // 00000000C1B0: D3B14006 1802753A
	v_pk_fma_f32 v[4:5], v[4:5], s[78:79], v[8:9]              // 00000000C1B8: D3B04004 1C209D04
	v_pk_fma_f32 v[6:7], v[6:7], s[78:79], v[8:9]              // 00000000C1C0: D3B04006 1C209D06
	v_pk_mul_f32 v[4:5], v[4:5], v[56:57]                      // 00000000C1C8: D3B14004 18027104
	v_pk_mul_f32 v[6:7], v[6:7], v[58:59]                      // 00000000C1D0: D3B14006 18027506
	v_pk_mul_f32 v[4:5], v[4:5], s[60:61]                      // 00000000C1D8: D3B14004 18007904
	v_pk_mul_f32 v[6:7], v[6:7], s[60:61]                      // 00000000C1E0: D3B14006 18007906
	v_exp_f32_e32 v4, v4                                       // 00000000C1E8: 7E084104
	v_exp_f32_e32 v5, v5                                       // 00000000C1EC: 7E0A4105
	v_exp_f32_e32 v6, v6                                       // 00000000C1F0: 7E0C4106
	v_exp_f32_e32 v7, v7                                       // 00000000C1F4: 7E0E4107
	v_add_f32_e64 v4, v4, 1.0                                  // 00000000C1F8: D1010004 0001E504
	v_add_f32_e64 v5, v5, 1.0                                  // 00000000C200: D1010005 0001E505
	v_add_f32_e64 v6, v6, 1.0                                  // 00000000C208: D1010006 0001E506
	v_add_f32_e64 v7, v7, 1.0                                  // 00000000C210: D1010007 0001E507
	v_rcp_f32_e32 v4, v4                                       // 00000000C218: 7E084504
	v_rcp_f32_e32 v5, v5                                       // 00000000C21C: 7E0A4505
	v_rcp_f32_e32 v6, v6                                       // 00000000C220: 7E0C4506
	v_rcp_f32_e32 v7, v7                                       // 00000000C224: 7E0E4507
	v_mul_f32_e32 v56, v56, v4                                 // 00000000C228: 0A700938
	v_mul_f32_e32 v57, v57, v5                                 // 00000000C22C: 0A720B39
	v_mul_f32_e32 v58, v58, v6                                 // 00000000C230: 0A740D3A
	v_mul_f32_e32 v59, v59, v7                                 // 00000000C234: 0A760F3B
	v_mul_f32_e32 v56, v56, v104                               // 00000000C238: 0A70D138
	v_mul_f32_e32 v57, v57, v105                               // 00000000C23C: 0A72D339
	v_mul_f32_e32 v58, v58, v106                               // 00000000C240: 0A74D53A
	v_mul_f32_e32 v59, v59, v107                               // 00000000C244: 0A76D73B
	v_pk_mul_f32 v[4:5], v[60:61], v[60:61]                    // 00000000C248: D3B14004 1802793C
	v_pk_mul_f32 v[6:7], v[62:63], v[62:63]                    // 00000000C250: D3B14006 18027D3E
	v_pk_fma_f32 v[4:5], v[4:5], s[78:79], v[8:9]              // 00000000C258: D3B04004 1C209D04
	v_pk_fma_f32 v[6:7], v[6:7], s[78:79], v[8:9]              // 00000000C260: D3B04006 1C209D06
	v_pk_mul_f32 v[4:5], v[4:5], v[60:61]                      // 00000000C268: D3B14004 18027904
	v_pk_mul_f32 v[6:7], v[6:7], v[62:63]                      // 00000000C270: D3B14006 18027D06
	v_pk_mul_f32 v[4:5], v[4:5], s[60:61]                      // 00000000C278: D3B14004 18007904
	v_pk_mul_f32 v[6:7], v[6:7], s[60:61]                      // 00000000C280: D3B14006 18007906
	v_exp_f32_e32 v4, v4                                       // 00000000C288: 7E084104
	v_exp_f32_e32 v5, v5                                       // 00000000C28C: 7E0A4105
	v_exp_f32_e32 v6, v6                                       // 00000000C290: 7E0C4106
	v_exp_f32_e32 v7, v7                                       // 00000000C294: 7E0E4107
	v_add_f32_e64 v4, v4, 1.0                                  // 00000000C298: D1010004 0001E504
	v_add_f32_e64 v5, v5, 1.0                                  // 00000000C2A0: D1010005 0001E505
	v_add_f32_e64 v6, v6, 1.0                                  // 00000000C2A8: D1010006 0001E506
	v_add_f32_e64 v7, v7, 1.0                                  // 00000000C2B0: D1010007 0001E507
	v_rcp_f32_e32 v4, v4                                       // 00000000C2B8: 7E084504
	v_rcp_f32_e32 v5, v5                                       // 00000000C2BC: 7E0A4505
	v_rcp_f32_e32 v6, v6                                       // 00000000C2C0: 7E0C4506
	v_rcp_f32_e32 v7, v7                                       // 00000000C2C4: 7E0E4507
	v_mul_f32_e32 v60, v60, v4                                 // 00000000C2C8: 0A78093C
	v_mul_f32_e32 v61, v61, v5                                 // 00000000C2CC: 0A7A0B3D
	v_mul_f32_e32 v62, v62, v6                                 // 00000000C2D0: 0A7C0D3E
	v_mul_f32_e32 v63, v63, v7                                 // 00000000C2D4: 0A7E0F3F
	v_mul_f32_e32 v60, v60, v108                               // 00000000C2D8: 0A78D93C
	v_mul_f32_e32 v61, v61, v109                               // 00000000C2DC: 0A7ADB3D
	v_mul_f32_e32 v62, v62, v110                               // 00000000C2E0: 0A7CDD3E
	v_mul_f32_e32 v63, v63, v111                               // 00000000C2E4: 0A7EDF3F
	v_pk_mul_f32 v[4:5], v[64:65], v[64:65]                    // 00000000C2E8: D3B14004 18028140
	v_pk_mul_f32 v[6:7], v[66:67], v[66:67]                    // 00000000C2F0: D3B14006 18028542
	v_pk_fma_f32 v[4:5], v[4:5], s[78:79], v[8:9]              // 00000000C2F8: D3B04004 1C209D04
	v_pk_fma_f32 v[6:7], v[6:7], s[78:79], v[8:9]              // 00000000C300: D3B04006 1C209D06
	v_pk_mul_f32 v[4:5], v[4:5], v[64:65]                      // 00000000C308: D3B14004 18028104
	v_pk_mul_f32 v[6:7], v[6:7], v[66:67]                      // 00000000C310: D3B14006 18028506
	v_pk_mul_f32 v[4:5], v[4:5], s[60:61]                      // 00000000C318: D3B14004 18007904
	v_pk_mul_f32 v[6:7], v[6:7], s[60:61]                      // 00000000C320: D3B14006 18007906
	v_exp_f32_e32 v4, v4                                       // 00000000C328: 7E084104
	v_exp_f32_e32 v5, v5                                       // 00000000C32C: 7E0A4105
	v_exp_f32_e32 v6, v6                                       // 00000000C330: 7E0C4106
	v_exp_f32_e32 v7, v7                                       // 00000000C334: 7E0E4107
	v_add_f32_e64 v4, v4, 1.0                                  // 00000000C338: D1010004 0001E504
	v_add_f32_e64 v5, v5, 1.0                                  // 00000000C340: D1010005 0001E505
	v_add_f32_e64 v6, v6, 1.0                                  // 00000000C348: D1010006 0001E506
	v_add_f32_e64 v7, v7, 1.0                                  // 00000000C350: D1010007 0001E507
	v_rcp_f32_e32 v4, v4                                       // 00000000C358: 7E084504
	v_rcp_f32_e32 v5, v5                                       // 00000000C35C: 7E0A4505
	v_rcp_f32_e32 v6, v6                                       // 00000000C360: 7E0C4506
	v_rcp_f32_e32 v7, v7                                       // 00000000C364: 7E0E4507
	v_mul_f32_e32 v64, v64, v4                                 // 00000000C368: 0A800940
	v_mul_f32_e32 v65, v65, v5                                 // 00000000C36C: 0A820B41
	v_mul_f32_e32 v66, v66, v6                                 // 00000000C370: 0A840D42
	v_mul_f32_e32 v67, v67, v7                                 // 00000000C374: 0A860F43
	v_mul_f32_e32 v64, v64, v112                               // 00000000C378: 0A80E140
	v_mul_f32_e32 v65, v65, v113                               // 00000000C37C: 0A82E341
	v_mul_f32_e32 v66, v66, v114                               // 00000000C380: 0A84E542
	v_mul_f32_e32 v67, v67, v115                               // 00000000C384: 0A86E743
	v_pk_mul_f32 v[4:5], v[68:69], v[68:69]                    // 00000000C388: D3B14004 18028944
	v_pk_mul_f32 v[6:7], v[70:71], v[70:71]                    // 00000000C390: D3B14006 18028D46
	v_pk_fma_f32 v[4:5], v[4:5], s[78:79], v[8:9]              // 00000000C398: D3B04004 1C209D04
	v_pk_fma_f32 v[6:7], v[6:7], s[78:79], v[8:9]              // 00000000C3A0: D3B04006 1C209D06
	v_pk_mul_f32 v[4:5], v[4:5], v[68:69]                      // 00000000C3A8: D3B14004 18028904
	v_pk_mul_f32 v[6:7], v[6:7], v[70:71]                      // 00000000C3B0: D3B14006 18028D06
	v_pk_mul_f32 v[4:5], v[4:5], s[60:61]                      // 00000000C3B8: D3B14004 18007904
	v_pk_mul_f32 v[6:7], v[6:7], s[60:61]                      // 00000000C3C0: D3B14006 18007906
	v_exp_f32_e32 v4, v4                                       // 00000000C3C8: 7E084104
	v_exp_f32_e32 v5, v5                                       // 00000000C3CC: 7E0A4105
	v_exp_f32_e32 v6, v6                                       // 00000000C3D0: 7E0C4106
	v_exp_f32_e32 v7, v7                                       // 00000000C3D4: 7E0E4107
	v_add_f32_e64 v4, v4, 1.0                                  // 00000000C3D8: D1010004 0001E504
	v_add_f32_e64 v5, v5, 1.0                                  // 00000000C3E0: D1010005 0001E505
	v_add_f32_e64 v6, v6, 1.0                                  // 00000000C3E8: D1010006 0001E506
	v_add_f32_e64 v7, v7, 1.0                                  // 00000000C3F0: D1010007 0001E507
	v_rcp_f32_e32 v4, v4                                       // 00000000C3F8: 7E084504
	v_rcp_f32_e32 v5, v5                                       // 00000000C3FC: 7E0A4505
	v_rcp_f32_e32 v6, v6                                       // 00000000C400: 7E0C4506
	v_rcp_f32_e32 v7, v7                                       // 00000000C404: 7E0E4507
	v_mul_f32_e32 v68, v68, v4                                 // 00000000C408: 0A880944
	v_mul_f32_e32 v69, v69, v5                                 // 00000000C40C: 0A8A0B45
	v_mul_f32_e32 v70, v70, v6                                 // 00000000C410: 0A8C0D46
	v_mul_f32_e32 v71, v71, v7                                 // 00000000C414: 0A8E0F47
	v_mul_f32_e32 v68, v68, v116                               // 00000000C418: 0A88E944
	v_mul_f32_e32 v69, v69, v117                               // 00000000C41C: 0A8AEB45
	v_mul_f32_e32 v70, v70, v118                               // 00000000C420: 0A8CED46
	v_mul_f32_e32 v71, v71, v119                               // 00000000C424: 0A8EEF47
	v_pk_mul_f32 v[4:5], v[72:73], v[72:73]                    // 00000000C428: D3B14004 18029148
	v_pk_mul_f32 v[6:7], v[74:75], v[74:75]                    // 00000000C430: D3B14006 1802954A
	v_pk_fma_f32 v[4:5], v[4:5], s[78:79], v[8:9]              // 00000000C438: D3B04004 1C209D04
	v_pk_fma_f32 v[6:7], v[6:7], s[78:79], v[8:9]              // 00000000C440: D3B04006 1C209D06
	v_pk_mul_f32 v[4:5], v[4:5], v[72:73]                      // 00000000C448: D3B14004 18029104
	v_pk_mul_f32 v[6:7], v[6:7], v[74:75]                      // 00000000C450: D3B14006 18029506
	v_pk_mul_f32 v[4:5], v[4:5], s[60:61]                      // 00000000C458: D3B14004 18007904
	v_pk_mul_f32 v[6:7], v[6:7], s[60:61]                      // 00000000C460: D3B14006 18007906
	v_exp_f32_e32 v4, v4                                       // 00000000C468: 7E084104
	v_exp_f32_e32 v5, v5                                       // 00000000C46C: 7E0A4105
	v_exp_f32_e32 v6, v6                                       // 00000000C470: 7E0C4106
	v_exp_f32_e32 v7, v7                                       // 00000000C474: 7E0E4107
	v_add_f32_e64 v4, v4, 1.0                                  // 00000000C478: D1010004 0001E504
	v_add_f32_e64 v5, v5, 1.0                                  // 00000000C480: D1010005 0001E505
	v_add_f32_e64 v6, v6, 1.0                                  // 00000000C488: D1010006 0001E506
	v_add_f32_e64 v7, v7, 1.0                                  // 00000000C490: D1010007 0001E507
	v_rcp_f32_e32 v4, v4                                       // 00000000C498: 7E084504
	v_rcp_f32_e32 v5, v5                                       // 00000000C49C: 7E0A4505
	v_rcp_f32_e32 v6, v6                                       // 00000000C4A0: 7E0C4506
	v_rcp_f32_e32 v7, v7                                       // 00000000C4A4: 7E0E4507
	v_mul_f32_e32 v72, v72, v4                                 // 00000000C4A8: 0A900948
	v_mul_f32_e32 v73, v73, v5                                 // 00000000C4AC: 0A920B49
	v_mul_f32_e32 v74, v74, v6                                 // 00000000C4B0: 0A940D4A
	v_mul_f32_e32 v75, v75, v7                                 // 00000000C4B4: 0A960F4B
	v_mul_f32_e32 v72, v72, v120                               // 00000000C4B8: 0A90F148
	v_mul_f32_e32 v73, v73, v121                               // 00000000C4BC: 0A92F349
	v_mul_f32_e32 v74, v74, v122                               // 00000000C4C0: 0A94F54A
	v_mul_f32_e32 v75, v75, v123                               // 00000000C4C4: 0A96F74B
	v_pk_mul_f32 v[4:5], v[76:77], v[76:77]                    // 00000000C4C8: D3B14004 1802994C
	v_pk_mul_f32 v[6:7], v[78:79], v[78:79]                    // 00000000C4D0: D3B14006 18029D4E
	v_pk_fma_f32 v[4:5], v[4:5], s[78:79], v[8:9]              // 00000000C4D8: D3B04004 1C209D04
	v_pk_fma_f32 v[6:7], v[6:7], s[78:79], v[8:9]              // 00000000C4E0: D3B04006 1C209D06
	v_pk_mul_f32 v[4:5], v[4:5], v[76:77]                      // 00000000C4E8: D3B14004 18029904
	v_pk_mul_f32 v[6:7], v[6:7], v[78:79]                      // 00000000C4F0: D3B14006 18029D06
	v_pk_mul_f32 v[4:5], v[4:5], s[60:61]                      // 00000000C4F8: D3B14004 18007904
	v_pk_mul_f32 v[6:7], v[6:7], s[60:61]                      // 00000000C500: D3B14006 18007906
	v_exp_f32_e32 v4, v4                                       // 00000000C508: 7E084104
	v_exp_f32_e32 v5, v5                                       // 00000000C50C: 7E0A4105
	v_exp_f32_e32 v6, v6                                       // 00000000C510: 7E0C4106
	v_exp_f32_e32 v7, v7                                       // 00000000C514: 7E0E4107
	v_add_f32_e64 v4, v4, 1.0                                  // 00000000C518: D1010004 0001E504
	v_add_f32_e64 v5, v5, 1.0                                  // 00000000C520: D1010005 0001E505
	v_add_f32_e64 v6, v6, 1.0                                  // 00000000C528: D1010006 0001E506
	v_add_f32_e64 v7, v7, 1.0                                  // 00000000C530: D1010007 0001E507
	v_rcp_f32_e32 v4, v4                                       // 00000000C538: 7E084504
	v_rcp_f32_e32 v5, v5                                       // 00000000C53C: 7E0A4505
	v_rcp_f32_e32 v6, v6                                       // 00000000C540: 7E0C4506
	v_rcp_f32_e32 v7, v7                                       // 00000000C544: 7E0E4507
	v_mul_f32_e32 v76, v76, v4                                 // 00000000C548: 0A98094C
	v_mul_f32_e32 v77, v77, v5                                 // 00000000C54C: 0A9A0B4D
	v_mul_f32_e32 v78, v78, v6                                 // 00000000C550: 0A9C0D4E
	v_mul_f32_e32 v79, v79, v7                                 // 00000000C554: 0A9E0F4F
	v_mul_f32_e32 v76, v76, v124                               // 00000000C558: 0A98F94C
	v_mul_f32_e32 v77, v77, v125                               // 00000000C55C: 0A9AFB4D
	v_mul_f32_e32 v78, v78, v126                               // 00000000C560: 0A9CFD4E
	v_mul_f32_e32 v79, v79, v127                               // 00000000C564: 0A9EFF4F
	v_pk_mul_f32 v[4:5], v[80:81], v[80:81]                    // 00000000C568: D3B14004 1802A150
	v_pk_mul_f32 v[6:7], v[82:83], v[82:83]                    // 00000000C570: D3B14006 1802A552
	v_pk_fma_f32 v[4:5], v[4:5], s[78:79], v[8:9]              // 00000000C578: D3B04004 1C209D04
	v_pk_fma_f32 v[6:7], v[6:7], s[78:79], v[8:9]              // 00000000C580: D3B04006 1C209D06
	v_pk_mul_f32 v[4:5], v[4:5], v[80:81]                      // 00000000C588: D3B14004 1802A104
	v_pk_mul_f32 v[6:7], v[6:7], v[82:83]                      // 00000000C590: D3B14006 1802A506
	v_pk_mul_f32 v[4:5], v[4:5], s[60:61]                      // 00000000C598: D3B14004 18007904
	v_pk_mul_f32 v[6:7], v[6:7], s[60:61]                      // 00000000C5A0: D3B14006 18007906
	v_exp_f32_e32 v4, v4                                       // 00000000C5A8: 7E084104
	v_exp_f32_e32 v5, v5                                       // 00000000C5AC: 7E0A4105
	v_exp_f32_e32 v6, v6                                       // 00000000C5B0: 7E0C4106
	v_exp_f32_e32 v7, v7                                       // 00000000C5B4: 7E0E4107
	v_add_f32_e64 v4, v4, 1.0                                  // 00000000C5B8: D1010004 0001E504
	v_add_f32_e64 v5, v5, 1.0                                  // 00000000C5C0: D1010005 0001E505
	v_add_f32_e64 v6, v6, 1.0                                  // 00000000C5C8: D1010006 0001E506
	v_add_f32_e64 v7, v7, 1.0                                  // 00000000C5D0: D1010007 0001E507
	v_rcp_f32_e32 v4, v4                                       // 00000000C5D8: 7E084504
	v_rcp_f32_e32 v5, v5                                       // 00000000C5DC: 7E0A4505
	v_rcp_f32_e32 v6, v6                                       // 00000000C5E0: 7E0C4506
	v_rcp_f32_e32 v7, v7                                       // 00000000C5E4: 7E0E4507
	v_mul_f32_e32 v80, v80, v4                                 // 00000000C5E8: 0AA00950
	v_mul_f32_e32 v81, v81, v5                                 // 00000000C5EC: 0AA20B51
	v_mul_f32_e32 v82, v82, v6                                 // 00000000C5F0: 0AA40D52
	v_mul_f32_e32 v83, v83, v7                                 // 00000000C5F4: 0AA60F53
	v_mul_f32_e32 v80, v80, v128                               // 00000000C5F8: 0AA10150
	v_mul_f32_e32 v81, v81, v129                               // 00000000C5FC: 0AA30351
	v_mul_f32_e32 v82, v82, v130                               // 00000000C600: 0AA50552
	v_mul_f32_e32 v83, v83, v131                               // 00000000C604: 0AA70753
	v_pk_mul_f32 v[4:5], v[84:85], v[84:85]                    // 00000000C608: D3B14004 1802A954
	v_pk_mul_f32 v[6:7], v[86:87], v[86:87]                    // 00000000C610: D3B14006 1802AD56
	v_pk_fma_f32 v[4:5], v[4:5], s[78:79], v[8:9]              // 00000000C618: D3B04004 1C209D04
	v_pk_fma_f32 v[6:7], v[6:7], s[78:79], v[8:9]              // 00000000C620: D3B04006 1C209D06
	v_pk_mul_f32 v[4:5], v[4:5], v[84:85]                      // 00000000C628: D3B14004 1802A904
	v_pk_mul_f32 v[6:7], v[6:7], v[86:87]                      // 00000000C630: D3B14006 1802AD06
	v_pk_mul_f32 v[4:5], v[4:5], s[60:61]                      // 00000000C638: D3B14004 18007904
	v_pk_mul_f32 v[6:7], v[6:7], s[60:61]                      // 00000000C640: D3B14006 18007906
	v_exp_f32_e32 v4, v4                                       // 00000000C648: 7E084104
	v_exp_f32_e32 v5, v5                                       // 00000000C64C: 7E0A4105
	v_exp_f32_e32 v6, v6                                       // 00000000C650: 7E0C4106
	v_exp_f32_e32 v7, v7                                       // 00000000C654: 7E0E4107
	v_add_f32_e64 v4, v4, 1.0                                  // 00000000C658: D1010004 0001E504
	v_add_f32_e64 v5, v5, 1.0                                  // 00000000C660: D1010005 0001E505
	v_add_f32_e64 v6, v6, 1.0                                  // 00000000C668: D1010006 0001E506
	v_add_f32_e64 v7, v7, 1.0                                  // 00000000C670: D1010007 0001E507
	v_rcp_f32_e32 v4, v4                                       // 00000000C678: 7E084504
	v_rcp_f32_e32 v5, v5                                       // 00000000C67C: 7E0A4505
	v_rcp_f32_e32 v6, v6                                       // 00000000C680: 7E0C4506
	v_rcp_f32_e32 v7, v7                                       // 00000000C684: 7E0E4507
	v_mul_f32_e32 v84, v84, v4                                 // 00000000C688: 0AA80954
	v_mul_f32_e32 v85, v85, v5                                 // 00000000C68C: 0AAA0B55
	v_mul_f32_e32 v86, v86, v6                                 // 00000000C690: 0AAC0D56
	v_mul_f32_e32 v87, v87, v7                                 // 00000000C694: 0AAE0F57
	v_mul_f32_e32 v84, v84, v132                               // 00000000C698: 0AA90954
	v_mul_f32_e32 v85, v85, v133                               // 00000000C69C: 0AAB0B55
	v_mul_f32_e32 v86, v86, v134                               // 00000000C6A0: 0AAD0D56
	v_mul_f32_e32 v87, v87, v135                               // 00000000C6A4: 0AAF0F57
	v_pk_mul_f32 v[4:5], v[88:89], v[88:89]                    // 00000000C6A8: D3B14004 1802B158
	v_pk_mul_f32 v[6:7], v[90:91], v[90:91]                    // 00000000C6B0: D3B14006 1802B55A
	v_pk_fma_f32 v[4:5], v[4:5], s[78:79], v[8:9]              // 00000000C6B8: D3B04004 1C209D04
	v_pk_fma_f32 v[6:7], v[6:7], s[78:79], v[8:9]              // 00000000C6C0: D3B04006 1C209D06
	v_pk_mul_f32 v[4:5], v[4:5], v[88:89]                      // 00000000C6C8: D3B14004 1802B104
	v_pk_mul_f32 v[6:7], v[6:7], v[90:91]                      // 00000000C6D0: D3B14006 1802B506
	v_pk_mul_f32 v[4:5], v[4:5], s[60:61]                      // 00000000C6D8: D3B14004 18007904
	v_pk_mul_f32 v[6:7], v[6:7], s[60:61]                      // 00000000C6E0: D3B14006 18007906
	v_exp_f32_e32 v4, v4                                       // 00000000C6E8: 7E084104
	v_exp_f32_e32 v5, v5                                       // 00000000C6EC: 7E0A4105
	v_exp_f32_e32 v6, v6                                       // 00000000C6F0: 7E0C4106
	v_exp_f32_e32 v7, v7                                       // 00000000C6F4: 7E0E4107
	v_add_f32_e64 v4, v4, 1.0                                  // 00000000C6F8: D1010004 0001E504
	v_add_f32_e64 v5, v5, 1.0                                  // 00000000C700: D1010005 0001E505
	v_add_f32_e64 v6, v6, 1.0                                  // 00000000C708: D1010006 0001E506
	v_add_f32_e64 v7, v7, 1.0                                  // 00000000C710: D1010007 0001E507
	v_rcp_f32_e32 v4, v4                                       // 00000000C718: 7E084504
	v_rcp_f32_e32 v5, v5                                       // 00000000C71C: 7E0A4505
	v_rcp_f32_e32 v6, v6                                       // 00000000C720: 7E0C4506
	v_rcp_f32_e32 v7, v7                                       // 00000000C724: 7E0E4507
	v_mul_f32_e32 v88, v88, v4                                 // 00000000C728: 0AB00958
	v_mul_f32_e32 v89, v89, v5                                 // 00000000C72C: 0AB20B59
	v_mul_f32_e32 v90, v90, v6                                 // 00000000C730: 0AB40D5A
	v_mul_f32_e32 v91, v91, v7                                 // 00000000C734: 0AB60F5B
	v_mul_f32_e32 v88, v88, v136                               // 00000000C738: 0AB11158
	v_mul_f32_e32 v89, v89, v137                               // 00000000C73C: 0AB31359
	v_mul_f32_e32 v90, v90, v138                               // 00000000C740: 0AB5155A
	v_mul_f32_e32 v91, v91, v139                               // 00000000C744: 0AB7175B
	v_pk_mul_f32 v[4:5], v[92:93], v[92:93]                    // 00000000C748: D3B14004 1802B95C
	v_pk_mul_f32 v[6:7], v[94:95], v[94:95]                    // 00000000C750: D3B14006 1802BD5E
	v_pk_fma_f32 v[4:5], v[4:5], s[78:79], v[8:9]              // 00000000C758: D3B04004 1C209D04
	v_pk_fma_f32 v[6:7], v[6:7], s[78:79], v[8:9]              // 00000000C760: D3B04006 1C209D06
	v_pk_mul_f32 v[4:5], v[4:5], v[92:93]                      // 00000000C768: D3B14004 1802B904
	v_pk_mul_f32 v[6:7], v[6:7], v[94:95]                      // 00000000C770: D3B14006 1802BD06
	v_pk_mul_f32 v[4:5], v[4:5], s[60:61]                      // 00000000C778: D3B14004 18007904
	v_pk_mul_f32 v[6:7], v[6:7], s[60:61]                      // 00000000C780: D3B14006 18007906
	v_exp_f32_e32 v4, v4                                       // 00000000C788: 7E084104
	v_exp_f32_e32 v5, v5                                       // 00000000C78C: 7E0A4105
	v_exp_f32_e32 v6, v6                                       // 00000000C790: 7E0C4106
	v_exp_f32_e32 v7, v7                                       // 00000000C794: 7E0E4107
	v_add_f32_e64 v4, v4, 1.0                                  // 00000000C798: D1010004 0001E504
	v_add_f32_e64 v5, v5, 1.0                                  // 00000000C7A0: D1010005 0001E505
	v_add_f32_e64 v6, v6, 1.0                                  // 00000000C7A8: D1010006 0001E506
	v_add_f32_e64 v7, v7, 1.0                                  // 00000000C7B0: D1010007 0001E507
	v_rcp_f32_e32 v4, v4                                       // 00000000C7B8: 7E084504
	v_rcp_f32_e32 v5, v5                                       // 00000000C7BC: 7E0A4505
	v_rcp_f32_e32 v6, v6                                       // 00000000C7C0: 7E0C4506
	v_rcp_f32_e32 v7, v7                                       // 00000000C7C4: 7E0E4507
	v_mul_f32_e32 v92, v92, v4                                 // 00000000C7C8: 0AB8095C
	v_mul_f32_e32 v93, v93, v5                                 // 00000000C7CC: 0ABA0B5D
	v_mul_f32_e32 v94, v94, v6                                 // 00000000C7D0: 0ABC0D5E
	v_mul_f32_e32 v95, v95, v7                                 // 00000000C7D4: 0ABE0F5F
	v_mul_f32_e32 v92, v92, v140                               // 00000000C7D8: 0AB9195C
	v_mul_f32_e32 v93, v93, v141                               // 00000000C7DC: 0ABB1B5D
	v_mul_f32_e32 v94, v94, v142                               // 00000000C7E0: 0ABD1D5E
	v_mul_f32_e32 v95, v95, v143                               // 00000000C7E4: 0ABF1F5F
	v_pk_mul_f32 v[4:5], v[96:97], v[96:97]                    // 00000000C7E8: D3B14004 1802C160
	v_pk_mul_f32 v[6:7], v[98:99], v[98:99]                    // 00000000C7F0: D3B14006 1802C562
	v_pk_fma_f32 v[4:5], v[4:5], s[78:79], v[8:9]              // 00000000C7F8: D3B04004 1C209D04
	v_pk_fma_f32 v[6:7], v[6:7], s[78:79], v[8:9]              // 00000000C800: D3B04006 1C209D06
	v_pk_mul_f32 v[4:5], v[4:5], v[96:97]                      // 00000000C808: D3B14004 1802C104
	v_pk_mul_f32 v[6:7], v[6:7], v[98:99]                      // 00000000C810: D3B14006 1802C506
	v_pk_mul_f32 v[4:5], v[4:5], s[60:61]                      // 00000000C818: D3B14004 18007904
	v_pk_mul_f32 v[6:7], v[6:7], s[60:61]                      // 00000000C820: D3B14006 18007906
	v_exp_f32_e32 v4, v4                                       // 00000000C828: 7E084104
	v_exp_f32_e32 v5, v5                                       // 00000000C82C: 7E0A4105
	v_exp_f32_e32 v6, v6                                       // 00000000C830: 7E0C4106
	v_exp_f32_e32 v7, v7                                       // 00000000C834: 7E0E4107
	v_add_f32_e64 v4, v4, 1.0                                  // 00000000C838: D1010004 0001E504
	v_add_f32_e64 v5, v5, 1.0                                  // 00000000C840: D1010005 0001E505
	v_add_f32_e64 v6, v6, 1.0                                  // 00000000C848: D1010006 0001E506
	v_add_f32_e64 v7, v7, 1.0                                  // 00000000C850: D1010007 0001E507
	v_rcp_f32_e32 v4, v4                                       // 00000000C858: 7E084504
	v_rcp_f32_e32 v5, v5                                       // 00000000C85C: 7E0A4505
	v_rcp_f32_e32 v6, v6                                       // 00000000C860: 7E0C4506
	v_rcp_f32_e32 v7, v7                                       // 00000000C864: 7E0E4507
	v_mul_f32_e32 v96, v96, v4                                 // 00000000C868: 0AC00960
	v_mul_f32_e32 v97, v97, v5                                 // 00000000C86C: 0AC20B61
	v_mul_f32_e32 v98, v98, v6                                 // 00000000C870: 0AC40D62
	v_mul_f32_e32 v99, v99, v7                                 // 00000000C874: 0AC60F63
	v_mul_f32_e32 v96, v96, v144                               // 00000000C878: 0AC12160
	v_mul_f32_e32 v97, v97, v145                               // 00000000C87C: 0AC32361
	v_mul_f32_e32 v98, v98, v146                               // 00000000C880: 0AC52562
	v_mul_f32_e32 v99, v99, v147                               // 00000000C884: 0AC72763
	s_branch label_2926                                        // 00000000C888: BF820180

000000000000c88c <label_27A6>:
	v_mul_f32_e64 v4, -v52, s6                                 // 00000000C88C: D1050004 20000D34
	v_mul_f32_e64 v5, -v53, s6                                 // 00000000C894: D1050005 20000D35
	v_mul_f32_e64 v6, -v54, s6                                 // 00000000C89C: D1050006 20000D36
	v_mul_f32_e64 v7, -v55, s6                                 // 00000000C8A4: D1050007 20000D37
	v_exp_f32_e32 v4, v4                                       // 00000000C8AC: 7E084104
	v_exp_f32_e32 v5, v5                                       // 00000000C8B0: 7E0A4105
	v_exp_f32_e32 v6, v6                                       // 00000000C8B4: 7E0C4106
	v_exp_f32_e32 v7, v7                                       // 00000000C8B8: 7E0E4107
	v_add_f32_e64 v4, v4, 1.0                                  // 00000000C8BC: D1010004 0001E504
	v_add_f32_e64 v5, v5, 1.0                                  // 00000000C8C4: D1010005 0001E505
	v_add_f32_e64 v6, v6, 1.0                                  // 00000000C8CC: D1010006 0001E506
	v_add_f32_e64 v7, v7, 1.0                                  // 00000000C8D4: D1010007 0001E507
	v_rcp_f32_e32 v4, v4                                       // 00000000C8DC: 7E084504
	v_rcp_f32_e32 v5, v5                                       // 00000000C8E0: 7E0A4505
	v_rcp_f32_e32 v6, v6                                       // 00000000C8E4: 7E0C4506
	v_rcp_f32_e32 v7, v7                                       // 00000000C8E8: 7E0E4507
	v_mul_f32_e32 v52, v52, v4                                 // 00000000C8EC: 0A680934
	v_mul_f32_e32 v53, v53, v5                                 // 00000000C8F0: 0A6A0B35
	v_mul_f32_e32 v54, v54, v6                                 // 00000000C8F4: 0A6C0D36
	v_mul_f32_e32 v55, v55, v7                                 // 00000000C8F8: 0A6E0F37
	v_mul_f32_e32 v52, v52, v100                               // 00000000C8FC: 0A68C934
	v_mul_f32_e32 v53, v53, v101                               // 00000000C900: 0A6ACB35
	v_mul_f32_e32 v54, v54, v102                               // 00000000C904: 0A6CCD36
	v_mul_f32_e32 v55, v55, v103                               // 00000000C908: 0A6ECF37
	v_mul_f32_e64 v4, -v56, s6                                 // 00000000C90C: D1050004 20000D38
	v_mul_f32_e64 v5, -v57, s6                                 // 00000000C914: D1050005 20000D39
	v_mul_f32_e64 v6, -v58, s6                                 // 00000000C91C: D1050006 20000D3A
	v_mul_f32_e64 v7, -v59, s6                                 // 00000000C924: D1050007 20000D3B
	v_exp_f32_e32 v4, v4                                       // 00000000C92C: 7E084104
	v_exp_f32_e32 v5, v5                                       // 00000000C930: 7E0A4105
	v_exp_f32_e32 v6, v6                                       // 00000000C934: 7E0C4106
	v_exp_f32_e32 v7, v7                                       // 00000000C938: 7E0E4107
	v_add_f32_e64 v4, v4, 1.0                                  // 00000000C93C: D1010004 0001E504
	v_add_f32_e64 v5, v5, 1.0                                  // 00000000C944: D1010005 0001E505
	v_add_f32_e64 v6, v6, 1.0                                  // 00000000C94C: D1010006 0001E506
	v_add_f32_e64 v7, v7, 1.0                                  // 00000000C954: D1010007 0001E507
	v_rcp_f32_e32 v4, v4                                       // 00000000C95C: 7E084504
	v_rcp_f32_e32 v5, v5                                       // 00000000C960: 7E0A4505
	v_rcp_f32_e32 v6, v6                                       // 00000000C964: 7E0C4506
	v_rcp_f32_e32 v7, v7                                       // 00000000C968: 7E0E4507
	v_mul_f32_e32 v56, v56, v4                                 // 00000000C96C: 0A700938
	v_mul_f32_e32 v57, v57, v5                                 // 00000000C970: 0A720B39
	v_mul_f32_e32 v58, v58, v6                                 // 00000000C974: 0A740D3A
	v_mul_f32_e32 v59, v59, v7                                 // 00000000C978: 0A760F3B
	v_mul_f32_e32 v56, v56, v104                               // 00000000C97C: 0A70D138
	v_mul_f32_e32 v57, v57, v105                               // 00000000C980: 0A72D339
	v_mul_f32_e32 v58, v58, v106                               // 00000000C984: 0A74D53A
	v_mul_f32_e32 v59, v59, v107                               // 00000000C988: 0A76D73B
	v_mul_f32_e64 v4, -v60, s6                                 // 00000000C98C: D1050004 20000D3C
	v_mul_f32_e64 v5, -v61, s6                                 // 00000000C994: D1050005 20000D3D
	v_mul_f32_e64 v6, -v62, s6                                 // 00000000C99C: D1050006 20000D3E
	v_mul_f32_e64 v7, -v63, s6                                 // 00000000C9A4: D1050007 20000D3F
	v_exp_f32_e32 v4, v4                                       // 00000000C9AC: 7E084104
	v_exp_f32_e32 v5, v5                                       // 00000000C9B0: 7E0A4105
	v_exp_f32_e32 v6, v6                                       // 00000000C9B4: 7E0C4106
	v_exp_f32_e32 v7, v7                                       // 00000000C9B8: 7E0E4107
	v_add_f32_e64 v4, v4, 1.0                                  // 00000000C9BC: D1010004 0001E504
	v_add_f32_e64 v5, v5, 1.0                                  // 00000000C9C4: D1010005 0001E505
	v_add_f32_e64 v6, v6, 1.0                                  // 00000000C9CC: D1010006 0001E506
	v_add_f32_e64 v7, v7, 1.0                                  // 00000000C9D4: D1010007 0001E507
	v_rcp_f32_e32 v4, v4                                       // 00000000C9DC: 7E084504
	v_rcp_f32_e32 v5, v5                                       // 00000000C9E0: 7E0A4505
	v_rcp_f32_e32 v6, v6                                       // 00000000C9E4: 7E0C4506
	v_rcp_f32_e32 v7, v7                                       // 00000000C9E8: 7E0E4507
	v_mul_f32_e32 v60, v60, v4                                 // 00000000C9EC: 0A78093C
	v_mul_f32_e32 v61, v61, v5                                 // 00000000C9F0: 0A7A0B3D
	v_mul_f32_e32 v62, v62, v6                                 // 00000000C9F4: 0A7C0D3E
	v_mul_f32_e32 v63, v63, v7                                 // 00000000C9F8: 0A7E0F3F
	v_mul_f32_e32 v60, v60, v108                               // 00000000C9FC: 0A78D93C
	v_mul_f32_e32 v61, v61, v109                               // 00000000CA00: 0A7ADB3D
	v_mul_f32_e32 v62, v62, v110                               // 00000000CA04: 0A7CDD3E
	v_mul_f32_e32 v63, v63, v111                               // 00000000CA08: 0A7EDF3F
	v_mul_f32_e64 v4, -v64, s6                                 // 00000000CA0C: D1050004 20000D40
	v_mul_f32_e64 v5, -v65, s6                                 // 00000000CA14: D1050005 20000D41
	v_mul_f32_e64 v6, -v66, s6                                 // 00000000CA1C: D1050006 20000D42
	v_mul_f32_e64 v7, -v67, s6                                 // 00000000CA24: D1050007 20000D43
	v_exp_f32_e32 v4, v4                                       // 00000000CA2C: 7E084104
	v_exp_f32_e32 v5, v5                                       // 00000000CA30: 7E0A4105
	v_exp_f32_e32 v6, v6                                       // 00000000CA34: 7E0C4106
	v_exp_f32_e32 v7, v7                                       // 00000000CA38: 7E0E4107
	v_add_f32_e64 v4, v4, 1.0                                  // 00000000CA3C: D1010004 0001E504
	v_add_f32_e64 v5, v5, 1.0                                  // 00000000CA44: D1010005 0001E505
	v_add_f32_e64 v6, v6, 1.0                                  // 00000000CA4C: D1010006 0001E506
	v_add_f32_e64 v7, v7, 1.0                                  // 00000000CA54: D1010007 0001E507
	v_rcp_f32_e32 v4, v4                                       // 00000000CA5C: 7E084504
	v_rcp_f32_e32 v5, v5                                       // 00000000CA60: 7E0A4505
	v_rcp_f32_e32 v6, v6                                       // 00000000CA64: 7E0C4506
	v_rcp_f32_e32 v7, v7                                       // 00000000CA68: 7E0E4507
	v_mul_f32_e32 v64, v64, v4                                 // 00000000CA6C: 0A800940
	v_mul_f32_e32 v65, v65, v5                                 // 00000000CA70: 0A820B41
	v_mul_f32_e32 v66, v66, v6                                 // 00000000CA74: 0A840D42
	v_mul_f32_e32 v67, v67, v7                                 // 00000000CA78: 0A860F43
	v_mul_f32_e32 v64, v64, v112                               // 00000000CA7C: 0A80E140
	v_mul_f32_e32 v65, v65, v113                               // 00000000CA80: 0A82E341
	v_mul_f32_e32 v66, v66, v114                               // 00000000CA84: 0A84E542
	v_mul_f32_e32 v67, v67, v115                               // 00000000CA88: 0A86E743
	v_mul_f32_e64 v4, -v68, s6                                 // 00000000CA8C: D1050004 20000D44
	v_mul_f32_e64 v5, -v69, s6                                 // 00000000CA94: D1050005 20000D45
	v_mul_f32_e64 v6, -v70, s6                                 // 00000000CA9C: D1050006 20000D46
	v_mul_f32_e64 v7, -v71, s6                                 // 00000000CAA4: D1050007 20000D47
	v_exp_f32_e32 v4, v4                                       // 00000000CAAC: 7E084104
	v_exp_f32_e32 v5, v5                                       // 00000000CAB0: 7E0A4105
	v_exp_f32_e32 v6, v6                                       // 00000000CAB4: 7E0C4106
	v_exp_f32_e32 v7, v7                                       // 00000000CAB8: 7E0E4107
	v_add_f32_e64 v4, v4, 1.0                                  // 00000000CABC: D1010004 0001E504
	v_add_f32_e64 v5, v5, 1.0                                  // 00000000CAC4: D1010005 0001E505
	v_add_f32_e64 v6, v6, 1.0                                  // 00000000CACC: D1010006 0001E506
	v_add_f32_e64 v7, v7, 1.0                                  // 00000000CAD4: D1010007 0001E507
	v_rcp_f32_e32 v4, v4                                       // 00000000CADC: 7E084504
	v_rcp_f32_e32 v5, v5                                       // 00000000CAE0: 7E0A4505
	v_rcp_f32_e32 v6, v6                                       // 00000000CAE4: 7E0C4506
	v_rcp_f32_e32 v7, v7                                       // 00000000CAE8: 7E0E4507
	v_mul_f32_e32 v68, v68, v4                                 // 00000000CAEC: 0A880944
	v_mul_f32_e32 v69, v69, v5                                 // 00000000CAF0: 0A8A0B45
	v_mul_f32_e32 v70, v70, v6                                 // 00000000CAF4: 0A8C0D46
	v_mul_f32_e32 v71, v71, v7                                 // 00000000CAF8: 0A8E0F47
	v_mul_f32_e32 v68, v68, v116                               // 00000000CAFC: 0A88E944
	v_mul_f32_e32 v69, v69, v117                               // 00000000CB00: 0A8AEB45
	v_mul_f32_e32 v70, v70, v118                               // 00000000CB04: 0A8CED46
	v_mul_f32_e32 v71, v71, v119                               // 00000000CB08: 0A8EEF47
	v_mul_f32_e64 v4, -v72, s6                                 // 00000000CB0C: D1050004 20000D48
	v_mul_f32_e64 v5, -v73, s6                                 // 00000000CB14: D1050005 20000D49
	v_mul_f32_e64 v6, -v74, s6                                 // 00000000CB1C: D1050006 20000D4A
	v_mul_f32_e64 v7, -v75, s6                                 // 00000000CB24: D1050007 20000D4B
	v_exp_f32_e32 v4, v4                                       // 00000000CB2C: 7E084104
	v_exp_f32_e32 v5, v5                                       // 00000000CB30: 7E0A4105
	v_exp_f32_e32 v6, v6                                       // 00000000CB34: 7E0C4106
	v_exp_f32_e32 v7, v7                                       // 00000000CB38: 7E0E4107
	v_add_f32_e64 v4, v4, 1.0                                  // 00000000CB3C: D1010004 0001E504
	v_add_f32_e64 v5, v5, 1.0                                  // 00000000CB44: D1010005 0001E505
	v_add_f32_e64 v6, v6, 1.0                                  // 00000000CB4C: D1010006 0001E506
	v_add_f32_e64 v7, v7, 1.0                                  // 00000000CB54: D1010007 0001E507
	v_rcp_f32_e32 v4, v4                                       // 00000000CB5C: 7E084504
	v_rcp_f32_e32 v5, v5                                       // 00000000CB60: 7E0A4505
	v_rcp_f32_e32 v6, v6                                       // 00000000CB64: 7E0C4506
	v_rcp_f32_e32 v7, v7                                       // 00000000CB68: 7E0E4507
	v_mul_f32_e32 v72, v72, v4                                 // 00000000CB6C: 0A900948
	v_mul_f32_e32 v73, v73, v5                                 // 00000000CB70: 0A920B49
	v_mul_f32_e32 v74, v74, v6                                 // 00000000CB74: 0A940D4A
	v_mul_f32_e32 v75, v75, v7                                 // 00000000CB78: 0A960F4B
	v_mul_f32_e32 v72, v72, v120                               // 00000000CB7C: 0A90F148
	v_mul_f32_e32 v73, v73, v121                               // 00000000CB80: 0A92F349
	v_mul_f32_e32 v74, v74, v122                               // 00000000CB84: 0A94F54A
	v_mul_f32_e32 v75, v75, v123                               // 00000000CB88: 0A96F74B
	v_mul_f32_e64 v4, -v76, s6                                 // 00000000CB8C: D1050004 20000D4C
	v_mul_f32_e64 v5, -v77, s6                                 // 00000000CB94: D1050005 20000D4D
	v_mul_f32_e64 v6, -v78, s6                                 // 00000000CB9C: D1050006 20000D4E
	v_mul_f32_e64 v7, -v79, s6                                 // 00000000CBA4: D1050007 20000D4F
	v_exp_f32_e32 v4, v4                                       // 00000000CBAC: 7E084104
	v_exp_f32_e32 v5, v5                                       // 00000000CBB0: 7E0A4105
	v_exp_f32_e32 v6, v6                                       // 00000000CBB4: 7E0C4106
	v_exp_f32_e32 v7, v7                                       // 00000000CBB8: 7E0E4107
	v_add_f32_e64 v4, v4, 1.0                                  // 00000000CBBC: D1010004 0001E504
	v_add_f32_e64 v5, v5, 1.0                                  // 00000000CBC4: D1010005 0001E505
	v_add_f32_e64 v6, v6, 1.0                                  // 00000000CBCC: D1010006 0001E506
	v_add_f32_e64 v7, v7, 1.0                                  // 00000000CBD4: D1010007 0001E507
	v_rcp_f32_e32 v4, v4                                       // 00000000CBDC: 7E084504
	v_rcp_f32_e32 v5, v5                                       // 00000000CBE0: 7E0A4505
	v_rcp_f32_e32 v6, v6                                       // 00000000CBE4: 7E0C4506
	v_rcp_f32_e32 v7, v7                                       // 00000000CBE8: 7E0E4507
	v_mul_f32_e32 v76, v76, v4                                 // 00000000CBEC: 0A98094C
	v_mul_f32_e32 v77, v77, v5                                 // 00000000CBF0: 0A9A0B4D
	v_mul_f32_e32 v78, v78, v6                                 // 00000000CBF4: 0A9C0D4E
	v_mul_f32_e32 v79, v79, v7                                 // 00000000CBF8: 0A9E0F4F
	v_mul_f32_e32 v76, v76, v124                               // 00000000CBFC: 0A98F94C
	v_mul_f32_e32 v77, v77, v125                               // 00000000CC00: 0A9AFB4D
	v_mul_f32_e32 v78, v78, v126                               // 00000000CC04: 0A9CFD4E
	v_mul_f32_e32 v79, v79, v127                               // 00000000CC08: 0A9EFF4F
	v_mul_f32_e64 v4, -v80, s6                                 // 00000000CC0C: D1050004 20000D50
	v_mul_f32_e64 v5, -v81, s6                                 // 00000000CC14: D1050005 20000D51
	v_mul_f32_e64 v6, -v82, s6                                 // 00000000CC1C: D1050006 20000D52
	v_mul_f32_e64 v7, -v83, s6                                 // 00000000CC24: D1050007 20000D53
	v_exp_f32_e32 v4, v4                                       // 00000000CC2C: 7E084104
	v_exp_f32_e32 v5, v5                                       // 00000000CC30: 7E0A4105
	v_exp_f32_e32 v6, v6                                       // 00000000CC34: 7E0C4106
	v_exp_f32_e32 v7, v7                                       // 00000000CC38: 7E0E4107
	v_add_f32_e64 v4, v4, 1.0                                  // 00000000CC3C: D1010004 0001E504
	v_add_f32_e64 v5, v5, 1.0                                  // 00000000CC44: D1010005 0001E505
	v_add_f32_e64 v6, v6, 1.0                                  // 00000000CC4C: D1010006 0001E506
	v_add_f32_e64 v7, v7, 1.0                                  // 00000000CC54: D1010007 0001E507
	v_rcp_f32_e32 v4, v4                                       // 00000000CC5C: 7E084504
	v_rcp_f32_e32 v5, v5                                       // 00000000CC60: 7E0A4505
	v_rcp_f32_e32 v6, v6                                       // 00000000CC64: 7E0C4506
	v_rcp_f32_e32 v7, v7                                       // 00000000CC68: 7E0E4507
	v_mul_f32_e32 v80, v80, v4                                 // 00000000CC6C: 0AA00950
	v_mul_f32_e32 v81, v81, v5                                 // 00000000CC70: 0AA20B51
	v_mul_f32_e32 v82, v82, v6                                 // 00000000CC74: 0AA40D52
	v_mul_f32_e32 v83, v83, v7                                 // 00000000CC78: 0AA60F53
	v_mul_f32_e32 v80, v80, v128                               // 00000000CC7C: 0AA10150
	v_mul_f32_e32 v81, v81, v129                               // 00000000CC80: 0AA30351
	v_mul_f32_e32 v82, v82, v130                               // 00000000CC84: 0AA50552
	v_mul_f32_e32 v83, v83, v131                               // 00000000CC88: 0AA70753
	v_mul_f32_e64 v4, -v84, s6                                 // 00000000CC8C: D1050004 20000D54
	v_mul_f32_e64 v5, -v85, s6                                 // 00000000CC94: D1050005 20000D55
	v_mul_f32_e64 v6, -v86, s6                                 // 00000000CC9C: D1050006 20000D56
	v_mul_f32_e64 v7, -v87, s6                                 // 00000000CCA4: D1050007 20000D57
	v_exp_f32_e32 v4, v4                                       // 00000000CCAC: 7E084104
	v_exp_f32_e32 v5, v5                                       // 00000000CCB0: 7E0A4105
	v_exp_f32_e32 v6, v6                                       // 00000000CCB4: 7E0C4106
	v_exp_f32_e32 v7, v7                                       // 00000000CCB8: 7E0E4107
	v_add_f32_e64 v4, v4, 1.0                                  // 00000000CCBC: D1010004 0001E504
	v_add_f32_e64 v5, v5, 1.0                                  // 00000000CCC4: D1010005 0001E505
	v_add_f32_e64 v6, v6, 1.0                                  // 00000000CCCC: D1010006 0001E506
	v_add_f32_e64 v7, v7, 1.0                                  // 00000000CCD4: D1010007 0001E507
	v_rcp_f32_e32 v4, v4                                       // 00000000CCDC: 7E084504
	v_rcp_f32_e32 v5, v5                                       // 00000000CCE0: 7E0A4505
	v_rcp_f32_e32 v6, v6                                       // 00000000CCE4: 7E0C4506
	v_rcp_f32_e32 v7, v7                                       // 00000000CCE8: 7E0E4507
	v_mul_f32_e32 v84, v84, v4                                 // 00000000CCEC: 0AA80954
	v_mul_f32_e32 v85, v85, v5                                 // 00000000CCF0: 0AAA0B55
	v_mul_f32_e32 v86, v86, v6                                 // 00000000CCF4: 0AAC0D56
	v_mul_f32_e32 v87, v87, v7                                 // 00000000CCF8: 0AAE0F57
	v_mul_f32_e32 v84, v84, v132                               // 00000000CCFC: 0AA90954
	v_mul_f32_e32 v85, v85, v133                               // 00000000CD00: 0AAB0B55
	v_mul_f32_e32 v86, v86, v134                               // 00000000CD04: 0AAD0D56
	v_mul_f32_e32 v87, v87, v135                               // 00000000CD08: 0AAF0F57
	v_mul_f32_e64 v4, -v88, s6                                 // 00000000CD0C: D1050004 20000D58
	v_mul_f32_e64 v5, -v89, s6                                 // 00000000CD14: D1050005 20000D59
	v_mul_f32_e64 v6, -v90, s6                                 // 00000000CD1C: D1050006 20000D5A
	v_mul_f32_e64 v7, -v91, s6                                 // 00000000CD24: D1050007 20000D5B
	v_exp_f32_e32 v4, v4                                       // 00000000CD2C: 7E084104
	v_exp_f32_e32 v5, v5                                       // 00000000CD30: 7E0A4105
	v_exp_f32_e32 v6, v6                                       // 00000000CD34: 7E0C4106
	v_exp_f32_e32 v7, v7                                       // 00000000CD38: 7E0E4107
	v_add_f32_e64 v4, v4, 1.0                                  // 00000000CD3C: D1010004 0001E504
	v_add_f32_e64 v5, v5, 1.0                                  // 00000000CD44: D1010005 0001E505
	v_add_f32_e64 v6, v6, 1.0                                  // 00000000CD4C: D1010006 0001E506
	v_add_f32_e64 v7, v7, 1.0                                  // 00000000CD54: D1010007 0001E507
	v_rcp_f32_e32 v4, v4                                       // 00000000CD5C: 7E084504
	v_rcp_f32_e32 v5, v5                                       // 00000000CD60: 7E0A4505
	v_rcp_f32_e32 v6, v6                                       // 00000000CD64: 7E0C4506
	v_rcp_f32_e32 v7, v7                                       // 00000000CD68: 7E0E4507
	v_mul_f32_e32 v88, v88, v4                                 // 00000000CD6C: 0AB00958
	v_mul_f32_e32 v89, v89, v5                                 // 00000000CD70: 0AB20B59
	v_mul_f32_e32 v90, v90, v6                                 // 00000000CD74: 0AB40D5A
	v_mul_f32_e32 v91, v91, v7                                 // 00000000CD78: 0AB60F5B
	v_mul_f32_e32 v88, v88, v136                               // 00000000CD7C: 0AB11158
	v_mul_f32_e32 v89, v89, v137                               // 00000000CD80: 0AB31359
	v_mul_f32_e32 v90, v90, v138                               // 00000000CD84: 0AB5155A
	v_mul_f32_e32 v91, v91, v139                               // 00000000CD88: 0AB7175B
	v_mul_f32_e64 v4, -v92, s6                                 // 00000000CD8C: D1050004 20000D5C
	v_mul_f32_e64 v5, -v93, s6                                 // 00000000CD94: D1050005 20000D5D
	v_mul_f32_e64 v6, -v94, s6                                 // 00000000CD9C: D1050006 20000D5E
	v_mul_f32_e64 v7, -v95, s6                                 // 00000000CDA4: D1050007 20000D5F
	v_exp_f32_e32 v4, v4                                       // 00000000CDAC: 7E084104
	v_exp_f32_e32 v5, v5                                       // 00000000CDB0: 7E0A4105
	v_exp_f32_e32 v6, v6                                       // 00000000CDB4: 7E0C4106
	v_exp_f32_e32 v7, v7                                       // 00000000CDB8: 7E0E4107
	v_add_f32_e64 v4, v4, 1.0                                  // 00000000CDBC: D1010004 0001E504
	v_add_f32_e64 v5, v5, 1.0                                  // 00000000CDC4: D1010005 0001E505
	v_add_f32_e64 v6, v6, 1.0                                  // 00000000CDCC: D1010006 0001E506
	v_add_f32_e64 v7, v7, 1.0                                  // 00000000CDD4: D1010007 0001E507
	v_rcp_f32_e32 v4, v4                                       // 00000000CDDC: 7E084504
	v_rcp_f32_e32 v5, v5                                       // 00000000CDE0: 7E0A4505
	v_rcp_f32_e32 v6, v6                                       // 00000000CDE4: 7E0C4506
	v_rcp_f32_e32 v7, v7                                       // 00000000CDE8: 7E0E4507
	v_mul_f32_e32 v92, v92, v4                                 // 00000000CDEC: 0AB8095C
	v_mul_f32_e32 v93, v93, v5                                 // 00000000CDF0: 0ABA0B5D
	v_mul_f32_e32 v94, v94, v6                                 // 00000000CDF4: 0ABC0D5E
	v_mul_f32_e32 v95, v95, v7                                 // 00000000CDF8: 0ABE0F5F
	v_mul_f32_e32 v92, v92, v140                               // 00000000CDFC: 0AB9195C
	v_mul_f32_e32 v93, v93, v141                               // 00000000CE00: 0ABB1B5D
	v_mul_f32_e32 v94, v94, v142                               // 00000000CE04: 0ABD1D5E
	v_mul_f32_e32 v95, v95, v143                               // 00000000CE08: 0ABF1F5F
	v_mul_f32_e64 v4, -v96, s6                                 // 00000000CE0C: D1050004 20000D60
	v_mul_f32_e64 v5, -v97, s6                                 // 00000000CE14: D1050005 20000D61
	v_mul_f32_e64 v6, -v98, s6                                 // 00000000CE1C: D1050006 20000D62
	v_mul_f32_e64 v7, -v99, s6                                 // 00000000CE24: D1050007 20000D63
	v_exp_f32_e32 v4, v4                                       // 00000000CE2C: 7E084104
	v_exp_f32_e32 v5, v5                                       // 00000000CE30: 7E0A4105
	v_exp_f32_e32 v6, v6                                       // 00000000CE34: 7E0C4106
	v_exp_f32_e32 v7, v7                                       // 00000000CE38: 7E0E4107
	v_add_f32_e64 v4, v4, 1.0                                  // 00000000CE3C: D1010004 0001E504
	v_add_f32_e64 v5, v5, 1.0                                  // 00000000CE44: D1010005 0001E505
	v_add_f32_e64 v6, v6, 1.0                                  // 00000000CE4C: D1010006 0001E506
	v_add_f32_e64 v7, v7, 1.0                                  // 00000000CE54: D1010007 0001E507
	v_rcp_f32_e32 v4, v4                                       // 00000000CE5C: 7E084504
	v_rcp_f32_e32 v5, v5                                       // 00000000CE60: 7E0A4505
	v_rcp_f32_e32 v6, v6                                       // 00000000CE64: 7E0C4506
	v_rcp_f32_e32 v7, v7                                       // 00000000CE68: 7E0E4507
	v_mul_f32_e32 v96, v96, v4                                 // 00000000CE6C: 0AC00960
	v_mul_f32_e32 v97, v97, v5                                 // 00000000CE70: 0AC20B61
	v_mul_f32_e32 v98, v98, v6                                 // 00000000CE74: 0AC40D62
	v_mul_f32_e32 v99, v99, v7                                 // 00000000CE78: 0AC60F63
	v_mul_f32_e32 v96, v96, v144                               // 00000000CE7C: 0AC12160
	v_mul_f32_e32 v97, v97, v145                               // 00000000CE80: 0AC32361
	v_mul_f32_e32 v98, v98, v146                               // 00000000CE84: 0AC52562
	v_mul_f32_e32 v99, v99, v147                               // 00000000CE88: 0AC72763

000000000000ce8c <label_2926>:
	s_cmp_eq_u32 s7, 0                                         // 00000000CE8C: BF068007
	s_cbranch_scc0 label_2933                                  // 00000000CE90: BF84000B
	v_and_b32_e32 v4, 15, v0                                   // 00000000CE94: 2608008F
	v_lshlrev_b32_e32 v4, 2, v4                                // 00000000CE98: 24080882
	buffer_load_dword v30, v4, s[12:15], 0 offen               // 00000000CE9C: E0501000 80031E04
	v_add_u32_e32 v4, 64, v4                                   // 00000000CEA4: 680808C0
	buffer_load_dword v31, v4, s[12:15], 0 offen               // 00000000CEA8: E0501000 80031F04
	v_add_u32_e32 v4, 64, v4                                   // 00000000CEB0: 680808C0
	buffer_load_dword v32, v4, s[12:15], 0 offen               // 00000000CEB4: E0501000 80032004
	v_add_u32_e32 v4, 64, v4                                   // 00000000CEBC: 680808C0

000000000000cec0 <label_2933>:
	v_lshlrev_b32_e32 v4, 2, v0                                // 00000000CEC0: 24080082
	s_mul_i32 s60, 0x100, s7                                   // 00000000CEC4: 923C07FF 00000100
	v_add_u32_e32 v106, s60, v4                                // 00000000CECC: 68D4083C
	v_and_b32_e32 v4, 15, v0                                   // 00000000CED0: 2608008F
	v_lshlrev_b32_e32 v107, 2, v4                              // 00000000CED4: 24D60882
	s_waitcnt lgkmcnt(0)                                       // 00000000CED8: BF8CC07F
	s_barrier                                                  // 00000000CEDC: BF8A0000
	v_mov_b32_e32 v100, 0x358637bd                             // 00000000CEE0: 7EC802FF 358637BD
	v_max3_f32 v100, |v52|, |v53|, v100                        // 00000000CEE8: D1D30364 05926B34
	v_max3_f32 v100, |v54|, |v55|, v100                        // 00000000CEF0: D1D30364 05926F36
	v_max3_f32 v100, |v64|, |v65|, v100                        // 00000000CEF8: D1D30364 05928340
	v_max3_f32 v100, |v66|, |v67|, v100                        // 00000000CF00: D1D30364 05928742
	ds_write_b32 v106, v100                                    // 00000000CF08: D81A0000 0000646A
	s_waitcnt lgkmcnt(0)                                       // 00000000CF10: BF8CC07F
	s_barrier                                                  // 00000000CF14: BF8A0000
	ds_read_b32 v4, v107                                       // 00000000CF18: D86C0000 0400006B
	ds_read_b32 v5, v107 offset:64                             // 00000000CF20: D86C0040 0500006B
	ds_read_b32 v6, v107 offset:128                            // 00000000CF28: D86C0080 0600006B
	ds_read_b32 v7, v107 offset:192                            // 00000000CF30: D86C00C0 0700006B
	ds_read_b32 v8, v107 offset:256                            // 00000000CF38: D86C0100 0800006B
	ds_read_b32 v9, v107 offset:320                            // 00000000CF40: D86C0140 0900006B
	ds_read_b32 v10, v107 offset:384                           // 00000000CF48: D86C0180 0A00006B
	ds_read_b32 v11, v107 offset:448                           // 00000000CF50: D86C01C0 0B00006B
	ds_read_b32 v12, v107 offset:512                           // 00000000CF58: D86C0200 0C00006B
	ds_read_b32 v13, v107 offset:576                           // 00000000CF60: D86C0240 0D00006B
	ds_read_b32 v14, v107 offset:640                           // 00000000CF68: D86C0280 0E00006B
	ds_read_b32 v15, v107 offset:704                           // 00000000CF70: D86C02C0 0F00006B
	ds_read_b32 v16, v107 offset:768                           // 00000000CF78: D86C0300 1000006B
	ds_read_b32 v17, v107 offset:832                           // 00000000CF80: D86C0340 1100006B
	ds_read_b32 v18, v107 offset:896                           // 00000000CF88: D86C0380 1200006B
	ds_read_b32 v19, v107 offset:960                           // 00000000CF90: D86C03C0 1300006B
	s_waitcnt lgkmcnt(0)                                       // 00000000CF98: BF8CC07F
	s_barrier                                                  // 00000000CF9C: BF8A0000
	v_max3_f32 v100, |v4|, |v5|, v100                          // 00000000CFA0: D1D30364 05920B04
	v_max3_f32 v100, |v6|, |v7|, v100                          // 00000000CFA8: D1D30364 05920F06
	v_max3_f32 v100, |v8|, |v9|, v100                          // 00000000CFB0: D1D30364 05921308
	v_max3_f32 v100, |v10|, |v11|, v100                        // 00000000CFB8: D1D30364 0592170A
	v_max3_f32 v100, |v12|, |v13|, v100                        // 00000000CFC0: D1D30364 05921B0C
	v_max3_f32 v100, |v14|, |v15|, v100                        // 00000000CFC8: D1D30364 05921F0E
	v_max3_f32 v100, |v16|, |v17|, v100                        // 00000000CFD0: D1D30364 05922310
	v_max3_f32 v100, |v18|, |v19|, v100                        // 00000000CFD8: D1D30364 05922712
	v_rcp_f32_e32 v100, v100                                   // 00000000CFE0: 7EC84564
	v_mov_b32_e32 v4, 0x43700000                               // 00000000CFE4: 7E0802FF 43700000
	v_mul_f32_e32 v100, v4, v100                               // 00000000CFEC: 0AC8C904
	v_mov_b32_e32 v4, v100                                     // 00000000CFF0: 7E080364
	v_mov_b32_e32 v5, v4                                       // 00000000CFF4: 7E0A0304
	v_pk_mul_f32 v[52:53], v[4:5], v[52:53]                    // 00000000CFF8: D3B14034 18026904
	v_pk_mul_f32 v[54:55], v[4:5], v[54:55]                    // 00000000D000: D3B14036 18026D04
	v_cvt_pk_fp8_f32 v52, v52, v53                             // 00000000D008: D2A20034 00026B34
	v_cvt_pk_fp8_f32 v52, v54, v55 op_sel:[0,0,1]              // 00000000D010: D2A24034 00026F36
	v_pk_mul_f32 v[64:65], v[4:5], v[64:65]                    // 00000000D018: D3B14040 18028104
	v_pk_mul_f32 v[66:67], v[4:5], v[66:67]                    // 00000000D020: D3B14042 18028504
	v_cvt_pk_fp8_f32 v64, v64, v65                             // 00000000D028: D2A20040 00028340
	v_cvt_pk_fp8_f32 v64, v66, v67 op_sel:[0,0,1]              // 00000000D030: D2A24040 00028742
	v_rcp_f32_e32 v100, v100                                   // 00000000D038: 7EC84564
	v_mov_b32_e32 v103, 0x358637bd                             // 00000000D03C: 7ECE02FF 358637BD
	v_max3_f32 v103, |v76|, |v77|, v103                        // 00000000D044: D1D30367 059E9B4C
	v_max3_f32 v103, |v78|, |v79|, v103                        // 00000000D04C: D1D30367 059E9F4E
	v_max3_f32 v103, |v88|, |v89|, v103                        // 00000000D054: D1D30367 059EB358
	v_max3_f32 v103, |v90|, |v91|, v103                        // 00000000D05C: D1D30367 059EB75A
	ds_write_b32 v106, v103                                    // 00000000D064: D81A0000 0000676A
	s_waitcnt lgkmcnt(0)                                       // 00000000D06C: BF8CC07F
	s_barrier                                                  // 00000000D070: BF8A0000
	ds_read_b32 v4, v107                                       // 00000000D074: D86C0000 0400006B
	ds_read_b32 v5, v107 offset:64                             // 00000000D07C: D86C0040 0500006B
	ds_read_b32 v6, v107 offset:128                            // 00000000D084: D86C0080 0600006B
	ds_read_b32 v7, v107 offset:192                            // 00000000D08C: D86C00C0 0700006B
	ds_read_b32 v8, v107 offset:256                            // 00000000D094: D86C0100 0800006B
	ds_read_b32 v9, v107 offset:320                            // 00000000D09C: D86C0140 0900006B
	ds_read_b32 v10, v107 offset:384                           // 00000000D0A4: D86C0180 0A00006B
	ds_read_b32 v11, v107 offset:448                           // 00000000D0AC: D86C01C0 0B00006B
	ds_read_b32 v12, v107 offset:512                           // 00000000D0B4: D86C0200 0C00006B
	ds_read_b32 v13, v107 offset:576                           // 00000000D0BC: D86C0240 0D00006B
	ds_read_b32 v14, v107 offset:640                           // 00000000D0C4: D86C0280 0E00006B
	ds_read_b32 v15, v107 offset:704                           // 00000000D0CC: D86C02C0 0F00006B
	ds_read_b32 v16, v107 offset:768                           // 00000000D0D4: D86C0300 1000006B
	ds_read_b32 v17, v107 offset:832                           // 00000000D0DC: D86C0340 1100006B
	ds_read_b32 v18, v107 offset:896                           // 00000000D0E4: D86C0380 1200006B
	ds_read_b32 v19, v107 offset:960                           // 00000000D0EC: D86C03C0 1300006B
	s_waitcnt lgkmcnt(0)                                       // 00000000D0F4: BF8CC07F
	s_barrier                                                  // 00000000D0F8: BF8A0000
	v_max3_f32 v103, |v4|, |v5|, v103                          // 00000000D0FC: D1D30367 059E0B04
	v_max3_f32 v103, |v6|, |v7|, v103                          // 00000000D104: D1D30367 059E0F06
	v_max3_f32 v103, |v8|, |v9|, v103                          // 00000000D10C: D1D30367 059E1308
	v_max3_f32 v103, |v10|, |v11|, v103                        // 00000000D114: D1D30367 059E170A
	v_max3_f32 v103, |v12|, |v13|, v103                        // 00000000D11C: D1D30367 059E1B0C
	v_max3_f32 v103, |v14|, |v15|, v103                        // 00000000D124: D1D30367 059E1F0E
	v_max3_f32 v103, |v16|, |v17|, v103                        // 00000000D12C: D1D30367 059E2310
	v_max3_f32 v103, |v18|, |v19|, v103                        // 00000000D134: D1D30367 059E2712
	v_rcp_f32_e32 v103, v103                                   // 00000000D13C: 7ECE4567
	v_mov_b32_e32 v4, 0x43700000                               // 00000000D140: 7E0802FF 43700000
	v_mul_f32_e32 v103, v4, v103                               // 00000000D148: 0ACECF04
	v_mov_b32_e32 v4, v103                                     // 00000000D14C: 7E080367
	v_mov_b32_e32 v5, v4                                       // 00000000D150: 7E0A0304
	v_pk_mul_f32 v[76:77], v[4:5], v[76:77]                    // 00000000D154: D3B1404C 18029904
	v_pk_mul_f32 v[78:79], v[4:5], v[78:79]                    // 00000000D15C: D3B1404E 18029D04
	v_cvt_pk_fp8_f32 v76, v76, v77                             // 00000000D164: D2A2004C 00029B4C
	v_cvt_pk_fp8_f32 v76, v78, v79 op_sel:[0,0,1]              // 00000000D16C: D2A2404C 00029F4E
	v_pk_mul_f32 v[88:89], v[4:5], v[88:89]                    // 00000000D174: D3B14058 1802B104
	v_pk_mul_f32 v[90:91], v[4:5], v[90:91]                    // 00000000D17C: D3B1405A 1802B504
	v_cvt_pk_fp8_f32 v88, v88, v89                             // 00000000D184: D2A20058 0002B358
	v_cvt_pk_fp8_f32 v88, v90, v91 op_sel:[0,0,1]              // 00000000D18C: D2A24058 0002B75A
	v_rcp_f32_e32 v103, v103                                   // 00000000D194: 7ECE4567
	v_mov_b32_e32 v101, 0x358637bd                             // 00000000D198: 7ECA02FF 358637BD
	v_max3_f32 v101, |v56|, |v57|, v101                        // 00000000D1A0: D1D30365 05967338
	v_max3_f32 v101, |v58|, |v59|, v101                        // 00000000D1A8: D1D30365 0596773A
	v_max3_f32 v101, |v68|, |v69|, v101                        // 00000000D1B0: D1D30365 05968B44
	v_max3_f32 v101, |v70|, |v71|, v101                        // 00000000D1B8: D1D30365 05968F46
	ds_write_b32 v106, v101                                    // 00000000D1C0: D81A0000 0000656A
	s_waitcnt lgkmcnt(0)                                       // 00000000D1C8: BF8CC07F
	s_barrier                                                  // 00000000D1CC: BF8A0000
	ds_read_b32 v4, v107                                       // 00000000D1D0: D86C0000 0400006B
	ds_read_b32 v5, v107 offset:64                             // 00000000D1D8: D86C0040 0500006B
	ds_read_b32 v6, v107 offset:128                            // 00000000D1E0: D86C0080 0600006B
	ds_read_b32 v7, v107 offset:192                            // 00000000D1E8: D86C00C0 0700006B
	ds_read_b32 v8, v107 offset:256                            // 00000000D1F0: D86C0100 0800006B
	ds_read_b32 v9, v107 offset:320                            // 00000000D1F8: D86C0140 0900006B
	ds_read_b32 v10, v107 offset:384                           // 00000000D200: D86C0180 0A00006B
	ds_read_b32 v11, v107 offset:448                           // 00000000D208: D86C01C0 0B00006B
	ds_read_b32 v12, v107 offset:512                           // 00000000D210: D86C0200 0C00006B
	ds_read_b32 v13, v107 offset:576                           // 00000000D218: D86C0240 0D00006B
	ds_read_b32 v14, v107 offset:640                           // 00000000D220: D86C0280 0E00006B
	ds_read_b32 v15, v107 offset:704                           // 00000000D228: D86C02C0 0F00006B
	ds_read_b32 v16, v107 offset:768                           // 00000000D230: D86C0300 1000006B
	ds_read_b32 v17, v107 offset:832                           // 00000000D238: D86C0340 1100006B
	ds_read_b32 v18, v107 offset:896                           // 00000000D240: D86C0380 1200006B
	ds_read_b32 v19, v107 offset:960                           // 00000000D248: D86C03C0 1300006B
	s_waitcnt lgkmcnt(0)                                       // 00000000D250: BF8CC07F
	s_barrier                                                  // 00000000D254: BF8A0000
	v_max3_f32 v101, |v4|, |v5|, v101                          // 00000000D258: D1D30365 05960B04
	v_max3_f32 v101, |v6|, |v7|, v101                          // 00000000D260: D1D30365 05960F06
	v_max3_f32 v101, |v8|, |v9|, v101                          // 00000000D268: D1D30365 05961308
	v_max3_f32 v101, |v10|, |v11|, v101                        // 00000000D270: D1D30365 0596170A
	v_max3_f32 v101, |v12|, |v13|, v101                        // 00000000D278: D1D30365 05961B0C
	v_max3_f32 v101, |v14|, |v15|, v101                        // 00000000D280: D1D30365 05961F0E
	v_max3_f32 v101, |v16|, |v17|, v101                        // 00000000D288: D1D30365 05962310
	v_max3_f32 v101, |v18|, |v19|, v101                        // 00000000D290: D1D30365 05962712
	v_rcp_f32_e32 v101, v101                                   // 00000000D298: 7ECA4565
	v_mov_b32_e32 v4, 0x43700000                               // 00000000D29C: 7E0802FF 43700000
	v_mul_f32_e32 v101, v4, v101                               // 00000000D2A4: 0ACACB04
	v_mov_b32_e32 v4, v101                                     // 00000000D2A8: 7E080365
	v_mov_b32_e32 v5, v4                                       // 00000000D2AC: 7E0A0304
	v_pk_mul_f32 v[56:57], v[4:5], v[56:57]                    // 00000000D2B0: D3B14038 18027104
	v_pk_mul_f32 v[58:59], v[4:5], v[58:59]                    // 00000000D2B8: D3B1403A 18027504
	v_cvt_pk_fp8_f32 v56, v56, v57                             // 00000000D2C0: D2A20038 00027338
	v_cvt_pk_fp8_f32 v56, v58, v59 op_sel:[0,0,1]              // 00000000D2C8: D2A24038 0002773A
	v_pk_mul_f32 v[68:69], v[4:5], v[68:69]                    // 00000000D2D0: D3B14044 18028904
	v_pk_mul_f32 v[70:71], v[4:5], v[70:71]                    // 00000000D2D8: D3B14046 18028D04
	v_cvt_pk_fp8_f32 v68, v68, v69                             // 00000000D2E0: D2A20044 00028B44
	v_cvt_pk_fp8_f32 v68, v70, v71 op_sel:[0,0,1]              // 00000000D2E8: D2A24044 00028F46
	v_rcp_f32_e32 v101, v101                                   // 00000000D2F0: 7ECA4565
	v_mov_b32_e32 v104, 0x358637bd                             // 00000000D2F4: 7ED002FF 358637BD
	v_max3_f32 v104, |v80|, |v81|, v104                        // 00000000D2FC: D1D30368 05A2A350
	v_max3_f32 v104, |v82|, |v83|, v104                        // 00000000D304: D1D30368 05A2A752
	v_max3_f32 v104, |v92|, |v93|, v104                        // 00000000D30C: D1D30368 05A2BB5C
	v_max3_f32 v104, |v94|, |v95|, v104                        // 00000000D314: D1D30368 05A2BF5E
	ds_write_b32 v106, v104                                    // 00000000D31C: D81A0000 0000686A
	s_waitcnt lgkmcnt(0)                                       // 00000000D324: BF8CC07F
	s_barrier                                                  // 00000000D328: BF8A0000
	ds_read_b32 v4, v107                                       // 00000000D32C: D86C0000 0400006B
	ds_read_b32 v5, v107 offset:64                             // 00000000D334: D86C0040 0500006B
	ds_read_b32 v6, v107 offset:128                            // 00000000D33C: D86C0080 0600006B
	ds_read_b32 v7, v107 offset:192                            // 00000000D344: D86C00C0 0700006B
	ds_read_b32 v8, v107 offset:256                            // 00000000D34C: D86C0100 0800006B
	ds_read_b32 v9, v107 offset:320                            // 00000000D354: D86C0140 0900006B
	ds_read_b32 v10, v107 offset:384                           // 00000000D35C: D86C0180 0A00006B
	ds_read_b32 v11, v107 offset:448                           // 00000000D364: D86C01C0 0B00006B
	ds_read_b32 v12, v107 offset:512                           // 00000000D36C: D86C0200 0C00006B
	ds_read_b32 v13, v107 offset:576                           // 00000000D374: D86C0240 0D00006B
	ds_read_b32 v14, v107 offset:640                           // 00000000D37C: D86C0280 0E00006B
	ds_read_b32 v15, v107 offset:704                           // 00000000D384: D86C02C0 0F00006B
	ds_read_b32 v16, v107 offset:768                           // 00000000D38C: D86C0300 1000006B
	ds_read_b32 v17, v107 offset:832                           // 00000000D394: D86C0340 1100006B
	ds_read_b32 v18, v107 offset:896                           // 00000000D39C: D86C0380 1200006B
	ds_read_b32 v19, v107 offset:960                           // 00000000D3A4: D86C03C0 1300006B
	s_waitcnt lgkmcnt(0)                                       // 00000000D3AC: BF8CC07F
	s_barrier                                                  // 00000000D3B0: BF8A0000
	v_max3_f32 v104, |v4|, |v5|, v104                          // 00000000D3B4: D1D30368 05A20B04
	v_max3_f32 v104, |v6|, |v7|, v104                          // 00000000D3BC: D1D30368 05A20F06
	v_max3_f32 v104, |v8|, |v9|, v104                          // 00000000D3C4: D1D30368 05A21308
	v_max3_f32 v104, |v10|, |v11|, v104                        // 00000000D3CC: D1D30368 05A2170A
	v_max3_f32 v104, |v12|, |v13|, v104                        // 00000000D3D4: D1D30368 05A21B0C
	v_max3_f32 v104, |v14|, |v15|, v104                        // 00000000D3DC: D1D30368 05A21F0E
	v_max3_f32 v104, |v16|, |v17|, v104                        // 00000000D3E4: D1D30368 05A22310
	v_max3_f32 v104, |v18|, |v19|, v104                        // 00000000D3EC: D1D30368 05A22712
	v_rcp_f32_e32 v104, v104                                   // 00000000D3F4: 7ED04568
	v_mov_b32_e32 v4, 0x43700000                               // 00000000D3F8: 7E0802FF 43700000
	v_mul_f32_e32 v104, v4, v104                               // 00000000D400: 0AD0D104
	v_mov_b32_e32 v4, v104                                     // 00000000D404: 7E080368
	v_mov_b32_e32 v5, v4                                       // 00000000D408: 7E0A0304
	v_pk_mul_f32 v[80:81], v[4:5], v[80:81]                    // 00000000D40C: D3B14050 1802A104
	v_pk_mul_f32 v[82:83], v[4:5], v[82:83]                    // 00000000D414: D3B14052 1802A504
	v_cvt_pk_fp8_f32 v80, v80, v81                             // 00000000D41C: D2A20050 0002A350
	v_cvt_pk_fp8_f32 v80, v82, v83 op_sel:[0,0,1]              // 00000000D424: D2A24050 0002A752
	v_pk_mul_f32 v[92:93], v[4:5], v[92:93]                    // 00000000D42C: D3B1405C 1802B904
	v_pk_mul_f32 v[94:95], v[4:5], v[94:95]                    // 00000000D434: D3B1405E 1802BD04
	v_cvt_pk_fp8_f32 v92, v92, v93                             // 00000000D43C: D2A2005C 0002BB5C
	v_cvt_pk_fp8_f32 v92, v94, v95 op_sel:[0,0,1]              // 00000000D444: D2A2405C 0002BF5E
	v_rcp_f32_e32 v104, v104                                   // 00000000D44C: 7ED04568
	v_mov_b32_e32 v102, 0x358637bd                             // 00000000D450: 7ECC02FF 358637BD
	v_max3_f32 v102, |v60|, |v61|, v102                        // 00000000D458: D1D30366 059A7B3C
	v_max3_f32 v102, |v62|, |v63|, v102                        // 00000000D460: D1D30366 059A7F3E
	v_max3_f32 v102, |v72|, |v73|, v102                        // 00000000D468: D1D30366 059A9348
	v_max3_f32 v102, |v74|, |v75|, v102                        // 00000000D470: D1D30366 059A974A
	ds_write_b32 v106, v102                                    // 00000000D478: D81A0000 0000666A
	s_waitcnt lgkmcnt(0)                                       // 00000000D480: BF8CC07F
	s_barrier                                                  // 00000000D484: BF8A0000
	ds_read_b32 v4, v107                                       // 00000000D488: D86C0000 0400006B
	ds_read_b32 v5, v107 offset:64                             // 00000000D490: D86C0040 0500006B
	ds_read_b32 v6, v107 offset:128                            // 00000000D498: D86C0080 0600006B
	ds_read_b32 v7, v107 offset:192                            // 00000000D4A0: D86C00C0 0700006B
	ds_read_b32 v8, v107 offset:256                            // 00000000D4A8: D86C0100 0800006B
	ds_read_b32 v9, v107 offset:320                            // 00000000D4B0: D86C0140 0900006B
	ds_read_b32 v10, v107 offset:384                           // 00000000D4B8: D86C0180 0A00006B
	ds_read_b32 v11, v107 offset:448                           // 00000000D4C0: D86C01C0 0B00006B
	ds_read_b32 v12, v107 offset:512                           // 00000000D4C8: D86C0200 0C00006B
	ds_read_b32 v13, v107 offset:576                           // 00000000D4D0: D86C0240 0D00006B
	ds_read_b32 v14, v107 offset:640                           // 00000000D4D8: D86C0280 0E00006B
	ds_read_b32 v15, v107 offset:704                           // 00000000D4E0: D86C02C0 0F00006B
	ds_read_b32 v16, v107 offset:768                           // 00000000D4E8: D86C0300 1000006B
	ds_read_b32 v17, v107 offset:832                           // 00000000D4F0: D86C0340 1100006B
	ds_read_b32 v18, v107 offset:896                           // 00000000D4F8: D86C0380 1200006B
	ds_read_b32 v19, v107 offset:960                           // 00000000D500: D86C03C0 1300006B
	s_waitcnt lgkmcnt(0)                                       // 00000000D508: BF8CC07F
	s_barrier                                                  // 00000000D50C: BF8A0000
	v_max3_f32 v102, |v4|, |v5|, v102                          // 00000000D510: D1D30366 059A0B04
	v_max3_f32 v102, |v6|, |v7|, v102                          // 00000000D518: D1D30366 059A0F06
	v_max3_f32 v102, |v8|, |v9|, v102                          // 00000000D520: D1D30366 059A1308
	v_max3_f32 v102, |v10|, |v11|, v102                        // 00000000D528: D1D30366 059A170A
	v_max3_f32 v102, |v12|, |v13|, v102                        // 00000000D530: D1D30366 059A1B0C
	v_max3_f32 v102, |v14|, |v15|, v102                        // 00000000D538: D1D30366 059A1F0E
	v_max3_f32 v102, |v16|, |v17|, v102                        // 00000000D540: D1D30366 059A2310
	v_max3_f32 v102, |v18|, |v19|, v102                        // 00000000D548: D1D30366 059A2712
	v_rcp_f32_e32 v102, v102                                   // 00000000D550: 7ECC4566
	v_mov_b32_e32 v4, 0x43700000                               // 00000000D554: 7E0802FF 43700000
	v_mul_f32_e32 v102, v4, v102                               // 00000000D55C: 0ACCCD04
	v_mov_b32_e32 v4, v102                                     // 00000000D560: 7E080366
	v_mov_b32_e32 v5, v4                                       // 00000000D564: 7E0A0304
	v_pk_mul_f32 v[60:61], v[4:5], v[60:61]                    // 00000000D568: D3B1403C 18027904
	v_pk_mul_f32 v[62:63], v[4:5], v[62:63]                    // 00000000D570: D3B1403E 18027D04
	v_cvt_pk_fp8_f32 v60, v60, v61                             // 00000000D578: D2A2003C 00027B3C
	v_cvt_pk_fp8_f32 v60, v62, v63 op_sel:[0,0,1]              // 00000000D580: D2A2403C 00027F3E
	v_pk_mul_f32 v[72:73], v[4:5], v[72:73]                    // 00000000D588: D3B14048 18029104
	v_pk_mul_f32 v[74:75], v[4:5], v[74:75]                    // 00000000D590: D3B1404A 18029504
	v_cvt_pk_fp8_f32 v72, v72, v73                             // 00000000D598: D2A20048 00029348
	v_cvt_pk_fp8_f32 v72, v74, v75 op_sel:[0,0,1]              // 00000000D5A0: D2A24048 0002974A
	v_rcp_f32_e32 v102, v102                                   // 00000000D5A8: 7ECC4566
	v_mov_b32_e32 v105, 0x358637bd                             // 00000000D5AC: 7ED202FF 358637BD
	v_max3_f32 v105, |v84|, |v85|, v105                        // 00000000D5B4: D1D30369 05A6AB54
	v_max3_f32 v105, |v86|, |v87|, v105                        // 00000000D5BC: D1D30369 05A6AF56
	v_max3_f32 v105, |v96|, |v97|, v105                        // 00000000D5C4: D1D30369 05A6C360
	v_max3_f32 v105, |v98|, |v99|, v105                        // 00000000D5CC: D1D30369 05A6C762
	ds_write_b32 v106, v105                                    // 00000000D5D4: D81A0000 0000696A
	s_waitcnt lgkmcnt(0)                                       // 00000000D5DC: BF8CC07F
	s_barrier                                                  // 00000000D5E0: BF8A0000
	ds_read_b32 v4, v107                                       // 00000000D5E4: D86C0000 0400006B
	ds_read_b32 v5, v107 offset:64                             // 00000000D5EC: D86C0040 0500006B
	ds_read_b32 v6, v107 offset:128                            // 00000000D5F4: D86C0080 0600006B
	ds_read_b32 v7, v107 offset:192                            // 00000000D5FC: D86C00C0 0700006B
	ds_read_b32 v8, v107 offset:256                            // 00000000D604: D86C0100 0800006B
	ds_read_b32 v9, v107 offset:320                            // 00000000D60C: D86C0140 0900006B
	ds_read_b32 v10, v107 offset:384                           // 00000000D614: D86C0180 0A00006B
	ds_read_b32 v11, v107 offset:448                           // 00000000D61C: D86C01C0 0B00006B
	ds_read_b32 v12, v107 offset:512                           // 00000000D624: D86C0200 0C00006B
	ds_read_b32 v13, v107 offset:576                           // 00000000D62C: D86C0240 0D00006B
	ds_read_b32 v14, v107 offset:640                           // 00000000D634: D86C0280 0E00006B
	ds_read_b32 v15, v107 offset:704                           // 00000000D63C: D86C02C0 0F00006B
	ds_read_b32 v16, v107 offset:768                           // 00000000D644: D86C0300 1000006B
	ds_read_b32 v17, v107 offset:832                           // 00000000D64C: D86C0340 1100006B
	ds_read_b32 v18, v107 offset:896                           // 00000000D654: D86C0380 1200006B
	ds_read_b32 v19, v107 offset:960                           // 00000000D65C: D86C03C0 1300006B
	s_waitcnt lgkmcnt(0)                                       // 00000000D664: BF8CC07F
	s_barrier                                                  // 00000000D668: BF8A0000
	v_max3_f32 v105, |v4|, |v5|, v105                          // 00000000D66C: D1D30369 05A60B04
	v_max3_f32 v105, |v6|, |v7|, v105                          // 00000000D674: D1D30369 05A60F06
	v_max3_f32 v105, |v8|, |v9|, v105                          // 00000000D67C: D1D30369 05A61308
	v_max3_f32 v105, |v10|, |v11|, v105                        // 00000000D684: D1D30369 05A6170A
	v_max3_f32 v105, |v12|, |v13|, v105                        // 00000000D68C: D1D30369 05A61B0C
	v_max3_f32 v105, |v14|, |v15|, v105                        // 00000000D694: D1D30369 05A61F0E
	v_max3_f32 v105, |v16|, |v17|, v105                        // 00000000D69C: D1D30369 05A62310
	v_max3_f32 v105, |v18|, |v19|, v105                        // 00000000D6A4: D1D30369 05A62712
	v_rcp_f32_e32 v105, v105                                   // 00000000D6AC: 7ED24569
	v_mov_b32_e32 v4, 0x43700000                               // 00000000D6B0: 7E0802FF 43700000
	v_mul_f32_e32 v105, v4, v105                               // 00000000D6B8: 0AD2D304
	v_mov_b32_e32 v4, v105                                     // 00000000D6BC: 7E080369
	v_mov_b32_e32 v5, v4                                       // 00000000D6C0: 7E0A0304
	v_pk_mul_f32 v[84:85], v[4:5], v[84:85]                    // 00000000D6C4: D3B14054 1802A904
	v_pk_mul_f32 v[86:87], v[4:5], v[86:87]                    // 00000000D6CC: D3B14056 1802AD04
	v_cvt_pk_fp8_f32 v84, v84, v85                             // 00000000D6D4: D2A20054 0002AB54
	v_cvt_pk_fp8_f32 v84, v86, v87 op_sel:[0,0,1]              // 00000000D6DC: D2A24054 0002AF56
	v_pk_mul_f32 v[96:97], v[4:5], v[96:97]                    // 00000000D6E4: D3B14060 1802C104
	v_pk_mul_f32 v[98:99], v[4:5], v[98:99]                    // 00000000D6EC: D3B14062 1802C504
	v_cvt_pk_fp8_f32 v96, v96, v97                             // 00000000D6F4: D2A20060 0002C360
	v_cvt_pk_fp8_f32 v96, v98, v99 op_sel:[0,0,1]              // 00000000D6FC: D2A24060 0002C762
	v_rcp_f32_e32 v105, v105                                   // 00000000D704: 7ED24569
	v_lshrrev_b32_e32 v4, 5, v0                                // 00000000D708: 20080085
	v_mul_lo_u32 v20, 34, v4                                   // 00000000D70C: D2850014 000208A2
	v_and_b32_e32 v4, 31, v0                                   // 00000000D714: 2608009F
	v_lshrrev_b32_e32 v5, 4, v4                                // 00000000D718: 200A0884
	v_add_u32_e32 v20, v5, v20                                 // 00000000D71C: 68282905
	v_and_b32_e32 v4, 15, v0                                   // 00000000D720: 2608008F
	v_mul_lo_u32 v5, 2, v4                                     // 00000000D724: D2850005 00020882
	v_add_u32_e32 v20, v5, v20                                 // 00000000D72C: 68282905
	s_mul_i32 s60, s7, 0x44                                    // 00000000D730: 923CFF07 00000044
	v_add_u32_e32 v20, s60, v20                                // 00000000D738: 6828283C
	v_lshlrev_b32_e32 v20, 2, v20                              // 00000000D73C: 24282882
	ds_write_b32 v20, v52                                      // 00000000D740: D81A0000 00003414
	ds_write_b32 v20, v56 offset:4352                          // 00000000D748: D81A1100 00003814
	ds_write_b32 v20, v60 offset:8704                          // 00000000D750: D81A2200 00003C14
	ds_write_b32 v20, v64 offset:1088                          // 00000000D758: D81A0440 00004014
	ds_write_b32 v20, v68 offset:5440                          // 00000000D760: D81A1540 00004414
	ds_write_b32 v20, v72 offset:9792                          // 00000000D768: D81A2640 00004814
	ds_write_b32 v20, v76 offset:2176                          // 00000000D770: D81A0880 00004C14
	ds_write_b32 v20, v80 offset:6528                          // 00000000D778: D81A1980 00005014
	ds_write_b32 v20, v84 offset:10880                         // 00000000D780: D81A2A80 00005414
	ds_write_b32 v20, v88 offset:3264                          // 00000000D788: D81A0CC0 00005814
	ds_write_b32 v20, v92 offset:7616                          // 00000000D790: D81A1DC0 00005C14
	ds_write_b32 v20, v96 offset:11968                         // 00000000D798: D81A2EC0 00006014
	v_lshrrev_b32_e32 v4, 5, v0                                // 00000000D7A0: 20080085
	v_xor_b32_e32 v5, 1, v4                                    // 00000000D7A4: 2A0A0881
	s_mul_i32 s60, s65, 1                                      // 00000000D7A8: 923C8141
	s_cmp_eq_u32 s88, 0                                        // 00000000D7AC: BF068058
	s_cselect_b32 s61, 1, 8                                    // 00000000D7B0: 853D8881
	s_mul_i32 s60, s61, s60                                    // 00000000D7B4: 923C3C3D
	v_readlane_b32 s82, v3, 0                                  // 00000000D7B8: D2890052 00010103
	s_lshr_b32 s61, s82, 24                                    // 00000000D7C0: 8F3D9852
	s_and_b32 s82, s82, 0xffffff                               // 00000000D7C4: 8652FF52 00FFFFFF
	s_mul_i32 s82, s82, s71                                    // 00000000D7CC: 92524752
	s_mul_i32 s61, s60, s61                                    // 00000000D7D0: 923D3D3C
	s_add_u32 s82, s82, s61                                    // 00000000D7D4: 80523D52
	v_mul_lo_u32 v6, v5, s82                                   // 00000000D7D8: D2850006 0000A505
	v_readlane_b32 s82, v3, 1                                  // 00000000D7E0: D2890052 00010303
	s_lshr_b32 s61, s82, 24                                    // 00000000D7E8: 8F3D9852
	s_and_b32 s82, s82, 0xffffff                               // 00000000D7EC: 8652FF52 00FFFFFF
	s_mul_i32 s82, s82, s71                                    // 00000000D7F4: 92524752
	s_mul_i32 s61, s60, s61                                    // 00000000D7F8: 923D3D3C
	s_add_u32 s82, s82, s61                                    // 00000000D7FC: 80523D52
	v_mul_lo_u32 v7, v4, s82                                   // 00000000D800: D2850007 0000A504
	v_add_u32_e32 v42, v6, v7                                  // 00000000D808: 68540F06
	v_readlane_b32 s82, v3, 2                                  // 00000000D80C: D2890052 00010503
	s_lshr_b32 s61, s82, 24                                    // 00000000D814: 8F3D9852
	s_and_b32 s82, s82, 0xffffff                               // 00000000D818: 8652FF52 00FFFFFF
	s_mul_i32 s82, s82, s71                                    // 00000000D820: 92524752
	s_mul_i32 s61, s60, s61                                    // 00000000D824: 923D3D3C
	s_add_u32 s82, s82, s61                                    // 00000000D828: 80523D52
	v_mul_lo_u32 v6, v5, s82                                   // 00000000D82C: D2850006 0000A505
	v_readlane_b32 s82, v3, 3                                  // 00000000D834: D2890052 00010703
	s_lshr_b32 s61, s82, 24                                    // 00000000D83C: 8F3D9852
	s_and_b32 s82, s82, 0xffffff                               // 00000000D840: 8652FF52 00FFFFFF
	s_mul_i32 s82, s82, s71                                    // 00000000D848: 92524752
	s_mul_i32 s61, s60, s61                                    // 00000000D84C: 923D3D3C
	s_add_u32 s82, s82, s61                                    // 00000000D850: 80523D52
	v_mul_lo_u32 v7, v4, s82                                   // 00000000D854: D2850007 0000A504
	v_add_u32_e32 v43, v6, v7                                  // 00000000D85C: 68560F06
	v_readlane_b32 s82, v3, 4                                  // 00000000D860: D2890052 00010903
	s_lshr_b32 s61, s82, 24                                    // 00000000D868: 8F3D9852
	s_and_b32 s82, s82, 0xffffff                               // 00000000D86C: 8652FF52 00FFFFFF
	s_mul_i32 s82, s82, s71                                    // 00000000D874: 92524752
	s_mul_i32 s61, s60, s61                                    // 00000000D878: 923D3D3C
	s_add_u32 s82, s82, s61                                    // 00000000D87C: 80523D52
	v_mul_lo_u32 v6, v5, s82                                   // 00000000D880: D2850006 0000A505
	v_readlane_b32 s82, v3, 5                                  // 00000000D888: D2890052 00010B03
	s_lshr_b32 s61, s82, 24                                    // 00000000D890: 8F3D9852
	s_and_b32 s82, s82, 0xffffff                               // 00000000D894: 8652FF52 00FFFFFF
	s_mul_i32 s82, s82, s71                                    // 00000000D89C: 92524752
	s_mul_i32 s61, s60, s61                                    // 00000000D8A0: 923D3D3C
	s_add_u32 s82, s82, s61                                    // 00000000D8A4: 80523D52
	v_mul_lo_u32 v7, v4, s82                                   // 00000000D8A8: D2850007 0000A504
	v_add_u32_e32 v44, v6, v7                                  // 00000000D8B0: 68580F06
	v_readlane_b32 s82, v3, 6                                  // 00000000D8B4: D2890052 00010D03
	s_lshr_b32 s61, s82, 24                                    // 00000000D8BC: 8F3D9852
	s_and_b32 s82, s82, 0xffffff                               // 00000000D8C0: 8652FF52 00FFFFFF
	s_mul_i32 s82, s82, s71                                    // 00000000D8C8: 92524752
	s_mul_i32 s61, s60, s61                                    // 00000000D8CC: 923D3D3C
	s_add_u32 s82, s82, s61                                    // 00000000D8D0: 80523D52
	v_mul_lo_u32 v6, v5, s82                                   // 00000000D8D4: D2850006 0000A505
	v_readlane_b32 s82, v3, 7                                  // 00000000D8DC: D2890052 00010F03
	s_lshr_b32 s61, s82, 24                                    // 00000000D8E4: 8F3D9852
	s_and_b32 s82, s82, 0xffffff                               // 00000000D8E8: 8652FF52 00FFFFFF
	s_mul_i32 s82, s82, s71                                    // 00000000D8F0: 92524752
	s_mul_i32 s61, s60, s61                                    // 00000000D8F4: 923D3D3C
	s_add_u32 s82, s82, s61                                    // 00000000D8F8: 80523D52
	v_mul_lo_u32 v7, v4, s82                                   // 00000000D8FC: D2850007 0000A504
	v_add_u32_e32 v45, v6, v7                                  // 00000000D904: 685A0F06
	v_readlane_b32 s82, v3, 8                                  // 00000000D908: D2890052 00011103
	s_lshr_b32 s61, s82, 24                                    // 00000000D910: 8F3D9852
	s_and_b32 s82, s82, 0xffffff                               // 00000000D914: 8652FF52 00FFFFFF
	s_mul_i32 s82, s82, s71                                    // 00000000D91C: 92524752
	s_mul_i32 s61, s60, s61                                    // 00000000D920: 923D3D3C
	s_add_u32 s82, s82, s61                                    // 00000000D924: 80523D52
	v_mul_lo_u32 v6, v5, s82                                   // 00000000D928: D2850006 0000A505
	v_readlane_b32 s82, v3, 9                                  // 00000000D930: D2890052 00011303
	s_lshr_b32 s61, s82, 24                                    // 00000000D938: 8F3D9852
	s_and_b32 s82, s82, 0xffffff                               // 00000000D93C: 8652FF52 00FFFFFF
	s_mul_i32 s82, s82, s71                                    // 00000000D944: 92524752
	s_mul_i32 s61, s60, s61                                    // 00000000D948: 923D3D3C
	s_add_u32 s82, s82, s61                                    // 00000000D94C: 80523D52
	v_mul_lo_u32 v7, v4, s82                                   // 00000000D950: D2850007 0000A504
	v_add_u32_e32 v46, v6, v7                                  // 00000000D958: 685C0F06
	v_readlane_b32 s82, v3, 10                                 // 00000000D95C: D2890052 00011503
	s_lshr_b32 s61, s82, 24                                    // 00000000D964: 8F3D9852
	s_and_b32 s82, s82, 0xffffff                               // 00000000D968: 8652FF52 00FFFFFF
	s_mul_i32 s82, s82, s71                                    // 00000000D970: 92524752
	s_mul_i32 s61, s60, s61                                    // 00000000D974: 923D3D3C
	s_add_u32 s82, s82, s61                                    // 00000000D978: 80523D52
	v_mul_lo_u32 v6, v5, s82                                   // 00000000D97C: D2850006 0000A505
	v_readlane_b32 s82, v3, 11                                 // 00000000D984: D2890052 00011703
	s_lshr_b32 s61, s82, 24                                    // 00000000D98C: 8F3D9852
	s_and_b32 s82, s82, 0xffffff                               // 00000000D990: 8652FF52 00FFFFFF
	s_mul_i32 s82, s82, s71                                    // 00000000D998: 92524752
	s_mul_i32 s61, s60, s61                                    // 00000000D99C: 923D3D3C
	s_add_u32 s82, s82, s61                                    // 00000000D9A0: 80523D52
	v_mul_lo_u32 v7, v4, s82                                   // 00000000D9A4: D2850007 0000A504
	v_add_u32_e32 v47, v6, v7                                  // 00000000D9AC: 685E0F06
	v_and_b32_e32 v4, 31, v0                                   // 00000000D9B0: 2608009F
	v_lshrrev_b32_e32 v4, 1, v4                                // 00000000D9B4: 20080881
	s_cmp_eq_u32 s88, 0                                        // 00000000D9B8: BF068058
	s_cselect_b32 s61, 2, 4                                    // 00000000D9BC: 853D8482
	v_mul_lo_u32 v4, v4, s61                                   // 00000000D9C0: D2850004 00007B04
	v_and_b32_e64 v5, v0, 1                                    // 00000000D9C8: D1130005 00010300
	v_add_u32_e32 v4, v4, v5                                   // 00000000D9D0: 68080B04
	v_lshlrev_b32_e32 v4, 2, v4                                // 00000000D9D4: 24080882
	v_add_u32_e32 v42, v42, v4                                 // 00000000D9D8: 6854092A
	v_add_u32_e32 v43, v43, v4                                 // 00000000D9DC: 6856092B
	v_add_u32_e32 v44, v44, v4                                 // 00000000D9E0: 6858092C
	v_add_u32_e32 v45, v45, v4                                 // 00000000D9E4: 685A092D
	v_add_u32_e32 v46, v46, v4                                 // 00000000D9E8: 685C092E
	v_add_u32_e32 v47, v47, v4                                 // 00000000D9EC: 685E092F
	s_waitcnt lgkmcnt(0)                                       // 00000000D9F0: BF8CC07F
	s_barrier                                                  // 00000000D9F4: BF8A0000
	ds_read_b32 v52, v21                                       // 00000000D9F8: D86C0000 34000015
	ds_read_b32 v53, v21 offset:64                             // 00000000DA00: D86C0040 35000015
	ds_read_b32 v54, v21 offset:2176                           // 00000000DA08: D86C0880 36000015
	ds_read_b32 v55, v21 offset:2240                           // 00000000DA10: D86C08C0 37000015
	ds_read_b32 v56, v21 offset:4352                           // 00000000DA18: D86C1100 38000015
	ds_read_b32 v57, v21 offset:4416                           // 00000000DA20: D86C1140 39000015
	ds_read_b32 v58, v21 offset:6528                           // 00000000DA28: D86C1980 3A000015
	ds_read_b32 v59, v21 offset:6592                           // 00000000DA30: D86C19C0 3B000015
	ds_read_b32 v60, v21 offset:8704                           // 00000000DA38: D86C2200 3C000015
	ds_read_b32 v61, v21 offset:8768                           // 00000000DA40: D86C2240 3D000015
	ds_read_b32 v62, v21 offset:10880                          // 00000000DA48: D86C2A80 3E000015
	ds_read_b32 v63, v21 offset:10944                          // 00000000DA50: D86C2AC0 3F000015
	s_waitcnt lgkmcnt(0)                                       // 00000000DA58: BF8CC07F
	s_mov_b32 s36, -1                                          // 00000000DA5C: BEA400C1
	s_mov_b32 s37, -1                                          // 00000000DA60: BEA500C1
	v_mov_b32_e32 v7, 0                                        // 00000000DA64: 7E0E0280
	s_or_b32 s9, s9, 0x40000                                   // 00000000DA68: 8709FF09 00040000
	s_mov_b64 exec, s[36:37]                                   // 00000000DA70: BEFE0124
	v_mov_b32_e32 v6, v42                                      // 00000000DA74: 7E0C032A
	s_mov_b64 s[60:61], 0                                      // 00000000DA78: BEBC0180
	v_readlane_b32 s82, v3, 0                                  // 00000000DA7C: D2890052 00010103
	s_and_b32 s82, s82, 0xffffff                               // 00000000DA84: 8652FF52 00FFFFFF
	s_cmp_lt_u32 s82, s66                                      // 00000000DA8C: BF0A4252
	s_cselect_b32 s20, s36, s60                                // 00000000DA90: 85143C24
	v_readlane_b32 s82, v3, 1                                  // 00000000DA94: D2890052 00010303
	s_and_b32 s82, s82, 0xffffff                               // 00000000DA9C: 8652FF52 00FFFFFF
	s_cmp_lt_u32 s82, s66                                      // 00000000DAA4: BF0A4252
	s_cselect_b32 s21, s36, s60                                // 00000000DAA8: 85153C24
	s_mov_b64 exec, s[20:21]                                   // 00000000DAAC: BEFE0114
	buffer_store_dword v52, v6, s[8:11], 0 offen               // 00000000DAB0: E0701000 80023406
	buffer_store_dword v54, v6, s[8:11], 0 offen offset:128    // 00000000DAB8: E0701080 80023606
	s_mov_b64 exec, s[36:37]                                   // 00000000DAC0: BEFE0124
	v_mov_b32_e32 v6, v43                                      // 00000000DAC4: 7E0C032B
	s_mov_b64 s[60:61], 0                                      // 00000000DAC8: BEBC0180
	v_readlane_b32 s82, v3, 2                                  // 00000000DACC: D2890052 00010503
	s_and_b32 s82, s82, 0xffffff                               // 00000000DAD4: 8652FF52 00FFFFFF
	s_cmp_lt_u32 s82, s66                                      // 00000000DADC: BF0A4252
	s_cselect_b32 s20, s36, s60                                // 00000000DAE0: 85143C24
	v_readlane_b32 s82, v3, 3                                  // 00000000DAE4: D2890052 00010703
	s_and_b32 s82, s82, 0xffffff                               // 00000000DAEC: 8652FF52 00FFFFFF
	s_cmp_lt_u32 s82, s66                                      // 00000000DAF4: BF0A4252
	s_cselect_b32 s21, s36, s60                                // 00000000DAF8: 85153C24
	s_mov_b64 exec, s[20:21]                                   // 00000000DAFC: BEFE0114
	buffer_store_dword v53, v6, s[8:11], 0 offen               // 00000000DB00: E0701000 80023506
	buffer_store_dword v55, v6, s[8:11], 0 offen offset:128    // 00000000DB08: E0701080 80023706
	s_mov_b64 exec, s[36:37]                                   // 00000000DB10: BEFE0124
	v_mov_b32_e32 v6, v44                                      // 00000000DB14: 7E0C032C
	s_mov_b64 s[60:61], 0                                      // 00000000DB18: BEBC0180
	v_readlane_b32 s82, v3, 4                                  // 00000000DB1C: D2890052 00010903
	s_and_b32 s82, s82, 0xffffff                               // 00000000DB24: 8652FF52 00FFFFFF
	s_cmp_lt_u32 s82, s66                                      // 00000000DB2C: BF0A4252
	s_cselect_b32 s20, s36, s60                                // 00000000DB30: 85143C24
	v_readlane_b32 s82, v3, 5                                  // 00000000DB34: D2890052 00010B03
	s_and_b32 s82, s82, 0xffffff                               // 00000000DB3C: 8652FF52 00FFFFFF
	s_cmp_lt_u32 s82, s66                                      // 00000000DB44: BF0A4252
	s_cselect_b32 s21, s36, s60                                // 00000000DB48: 85153C24
	s_mov_b64 exec, s[20:21]                                   // 00000000DB4C: BEFE0114
	buffer_store_dword v56, v6, s[8:11], 0 offen               // 00000000DB50: E0701000 80023806
	buffer_store_dword v58, v6, s[8:11], 0 offen offset:128    // 00000000DB58: E0701080 80023A06
	s_mov_b64 exec, s[36:37]                                   // 00000000DB60: BEFE0124
	v_mov_b32_e32 v6, v45                                      // 00000000DB64: 7E0C032D
	s_mov_b64 s[60:61], 0                                      // 00000000DB68: BEBC0180
	v_readlane_b32 s82, v3, 6                                  // 00000000DB6C: D2890052 00010D03
	s_and_b32 s82, s82, 0xffffff                               // 00000000DB74: 8652FF52 00FFFFFF
	s_cmp_lt_u32 s82, s66                                      // 00000000DB7C: BF0A4252
	s_cselect_b32 s20, s36, s60                                // 00000000DB80: 85143C24
	v_readlane_b32 s82, v3, 7                                  // 00000000DB84: D2890052 00010F03
	s_and_b32 s82, s82, 0xffffff                               // 00000000DB8C: 8652FF52 00FFFFFF
	s_cmp_lt_u32 s82, s66                                      // 00000000DB94: BF0A4252
	s_cselect_b32 s21, s36, s60                                // 00000000DB98: 85153C24
	s_mov_b64 exec, s[20:21]                                   // 00000000DB9C: BEFE0114
	buffer_store_dword v57, v6, s[8:11], 0 offen               // 00000000DBA0: E0701000 80023906
	buffer_store_dword v59, v6, s[8:11], 0 offen offset:128    // 00000000DBA8: E0701080 80023B06
	s_mov_b64 exec, s[36:37]                                   // 00000000DBB0: BEFE0124
	v_mov_b32_e32 v6, v46                                      // 00000000DBB4: 7E0C032E
	s_mov_b64 s[60:61], 0                                      // 00000000DBB8: BEBC0180
	v_readlane_b32 s82, v3, 8                                  // 00000000DBBC: D2890052 00011103
	s_and_b32 s82, s82, 0xffffff                               // 00000000DBC4: 8652FF52 00FFFFFF
	s_cmp_lt_u32 s82, s66                                      // 00000000DBCC: BF0A4252
	s_cselect_b32 s20, s36, s60                                // 00000000DBD0: 85143C24
	v_readlane_b32 s82, v3, 9                                  // 00000000DBD4: D2890052 00011303
	s_and_b32 s82, s82, 0xffffff                               // 00000000DBDC: 8652FF52 00FFFFFF
	s_cmp_lt_u32 s82, s66                                      // 00000000DBE4: BF0A4252
	s_cselect_b32 s21, s36, s60                                // 00000000DBE8: 85153C24
	s_mov_b64 exec, s[20:21]                                   // 00000000DBEC: BEFE0114
	buffer_store_dword v60, v6, s[8:11], 0 offen               // 00000000DBF0: E0701000 80023C06
	buffer_store_dword v62, v6, s[8:11], 0 offen offset:128    // 00000000DBF8: E0701080 80023E06
	s_mov_b64 exec, s[36:37]                                   // 00000000DC00: BEFE0124
	v_mov_b32_e32 v6, v47                                      // 00000000DC04: 7E0C032F
	s_mov_b64 s[60:61], 0                                      // 00000000DC08: BEBC0180
	v_readlane_b32 s82, v3, 10                                 // 00000000DC0C: D2890052 00011503
	s_and_b32 s82, s82, 0xffffff                               // 00000000DC14: 8652FF52 00FFFFFF
	s_cmp_lt_u32 s82, s66                                      // 00000000DC1C: BF0A4252
	s_cselect_b32 s20, s36, s60                                // 00000000DC20: 85143C24
	v_readlane_b32 s82, v3, 11                                 // 00000000DC24: D2890052 00011703
	s_and_b32 s82, s82, 0xffffff                               // 00000000DC2C: 8652FF52 00FFFFFF
	s_cmp_lt_u32 s82, s66                                      // 00000000DC34: BF0A4252
	s_cselect_b32 s21, s36, s60                                // 00000000DC38: 85153C24
	s_mov_b64 exec, s[20:21]                                   // 00000000DC3C: BEFE0114
	buffer_store_dword v61, v6, s[8:11], 0 offen               // 00000000DC40: E0701000 80023D06
	buffer_store_dword v63, v6, s[8:11], 0 offen offset:128    // 00000000DC48: E0701080 80023F06
	s_mov_b64 exec, s[36:37]                                   // 00000000DC50: BEFE0124
	s_cmp_eq_u32 s7, 0                                         // 00000000DC54: BF068007
	s_cbranch_scc0 label_30DE                                  // 00000000DC58: BF840444
	s_waitcnt vmcnt(12)                                        // 00000000DC5C: BF8C0F7C
	s_mov_b32 s8, s90                                          // 00000000DC60: BE88005A
	s_mov_b32 s9, s91                                          // 00000000DC64: BE89005B
	s_mul_i32 s60, s66, s71                                    // 00000000DC68: 923C4742
	s_add_u32 s8, s60, s8                                      // 00000000DC6C: 8008083C
	s_addc_u32 s9, 0, s9                                       // 00000000DC70: 82090980
	s_lshr_b32 s71, s71, 5                                     // 00000000DC74: 8F478547
	s_mul_i32 s60, s66, s71                                    // 00000000DC78: 923C4742
	s_mov_b32 s10, s60                                         // 00000000DC7C: BE8A003C
	s_lshr_b32 s61, s65, 5                                     // 00000000DC80: 8F3D8541
	s_mul_i32 s60, s2, 8                                       // 00000000DC84: 923C8802
	v_lshrrev_b32_e32 v4, 24, v30                              // 00000000DC88: 20083C98
	v_mul_lo_u32 v4, s61, v4                                   // 00000000DC8C: D2850004 0002083D
	v_and_b32_e32 v30, 0xffffff, v30                           // 00000000DC94: 263C3CFF 00FFFFFF
	v_mul_lo_u32 v30, s71, v30                                 // 00000000DC9C: D285001E 00023C47
	v_add_u32_e32 v30, v4, v30                                 // 00000000DCA4: 683C3D04
	v_add_u32_e32 v30, s60, v30                                // 00000000DCA8: 683C3C3C
	v_lshrrev_b32_e32 v4, 24, v31                              // 00000000DCAC: 20083E98
	v_mul_lo_u32 v4, s61, v4                                   // 00000000DCB0: D2850004 0002083D
	v_and_b32_e32 v31, 0xffffff, v31                           // 00000000DCB8: 263E3EFF 00FFFFFF
	v_mul_lo_u32 v31, s71, v31                                 // 00000000DCC0: D285001F 00023E47
	v_add_u32_e32 v31, v4, v31                                 // 00000000DCC8: 683E3F04
	v_add_u32_e32 v31, s60, v31                                // 00000000DCCC: 683E3E3C
	v_lshrrev_b32_e32 v4, 24, v32                              // 00000000DCD0: 20084098
	v_mul_lo_u32 v4, s61, v4                                   // 00000000DCD4: D2850004 0002083D
	v_and_b32_e32 v32, 0xffffff, v32                           // 00000000DCDC: 264040FF 00FFFFFF
	v_mul_lo_u32 v32, s71, v32                                 // 00000000DCE4: D2850020 00024047
	v_add_u32_e32 v32, v4, v32                                 // 00000000DCEC: 68404104
	v_add_u32_e32 v32, s60, v32                                // 00000000DCF0: 6840403C
	s_mov_b64 exec, 0xffff                                     // 00000000DCF4: BEFE01FF 0000FFFF
	buffer_store_dword v100, v30, s[8:11], 0 offen             // 00000000DCFC: E0701000 8002641E
	buffer_store_dword v103, v30, s[8:11], 0 offen offset:4    // 00000000DD04: E0701004 8002671E
	buffer_store_dword v101, v31, s[8:11], 0 offen             // 00000000DD0C: E0701000 8002651F
	buffer_store_dword v104, v31, s[8:11], 0 offen offset:4    // 00000000DD14: E0701004 8002681F
	buffer_store_dword v102, v32, s[8:11], 0 offen             // 00000000DD1C: E0701000 80026620
	buffer_store_dword v105, v32, s[8:11], 0 offen offset:4    // 00000000DD24: E0701004 80026920
	s_mov_b64 exec, s[36:37]                                   // 00000000DD2C: BEFE0124
	s_branch label_30DE                                        // 00000000DD30: BF82040E

000000000000dd34 <label_2CD0>:
	ds_write_b64 v20, v[52:53]                                 // 00000000DD34: D89A0000 00003414
	ds_write_b64 v20, v[56:57] offset:8704                     // 00000000DD3C: D89A2200 00003814
	ds_write_b64 v20, v[60:61] offset:17408                    // 00000000DD44: D89A4400 00003C14
	ds_write_b64 v20, v[64:65] offset:2176                     // 00000000DD4C: D89A0880 00004014
	ds_write_b64 v20, v[68:69] offset:10880                    // 00000000DD54: D89A2A80 00004414
	ds_write_b64 v20, v[72:73] offset:19584                    // 00000000DD5C: D89A4C80 00004814
	ds_write_b64 v20, v[76:77] offset:4352                     // 00000000DD64: D89A1100 00004C14
	ds_write_b64 v20, v[80:81] offset:13056                    // 00000000DD6C: D89A3300 00005014
	ds_write_b64 v20, v[84:85] offset:21760                    // 00000000DD74: D89A5500 00005414
	ds_write_b64 v20, v[88:89] offset:6528                     // 00000000DD7C: D89A1980 00005814
	ds_write_b64 v20, v[92:93] offset:15232                    // 00000000DD84: D89A3B80 00005C14
	ds_write_b64 v20, v[96:97] offset:23936                    // 00000000DD8C: D89A5D80 00006014
	v_lshrrev_b32_e32 v4, 5, v0                                // 00000000DD94: 20080085
	v_xor_b32_e32 v5, 1, v4                                    // 00000000DD98: 2A0A0881
	s_mul_i32 s60, s65, 1                                      // 00000000DD9C: 923C8141
	s_cmp_eq_u32 s88, 0                                        // 00000000DDA0: BF068058
	s_cselect_b32 s61, 1, 8                                    // 00000000DDA4: 853D8881
	s_mul_i32 s60, s61, s60                                    // 00000000DDA8: 923C3C3D
	v_readlane_b32 s82, v3, 0                                  // 00000000DDAC: D2890052 00010103
	s_lshr_b32 s61, s82, 24                                    // 00000000DDB4: 8F3D9852
	s_and_b32 s82, s82, 0xffffff                               // 00000000DDB8: 8652FF52 00FFFFFF
	s_mul_i32 s82, s82, s71                                    // 00000000DDC0: 92524752
	s_mul_i32 s61, s60, s61                                    // 00000000DDC4: 923D3D3C
	s_add_u32 s82, s82, s61                                    // 00000000DDC8: 80523D52
	v_mul_lo_u32 v6, v5, s82                                   // 00000000DDCC: D2850006 0000A505
	v_readlane_b32 s82, v3, 1                                  // 00000000DDD4: D2890052 00010303
	s_lshr_b32 s61, s82, 24                                    // 00000000DDDC: 8F3D9852
	s_and_b32 s82, s82, 0xffffff                               // 00000000DDE0: 8652FF52 00FFFFFF
	s_mul_i32 s82, s82, s71                                    // 00000000DDE8: 92524752
	s_mul_i32 s61, s60, s61                                    // 00000000DDEC: 923D3D3C
	s_add_u32 s82, s82, s61                                    // 00000000DDF0: 80523D52
	v_mul_lo_u32 v7, v4, s82                                   // 00000000DDF4: D2850007 0000A504
	v_add_u32_e32 v42, v6, v7                                  // 00000000DDFC: 68540F06
	v_readlane_b32 s82, v3, 2                                  // 00000000DE00: D2890052 00010503
	s_lshr_b32 s61, s82, 24                                    // 00000000DE08: 8F3D9852
	s_and_b32 s82, s82, 0xffffff                               // 00000000DE0C: 8652FF52 00FFFFFF
	s_mul_i32 s82, s82, s71                                    // 00000000DE14: 92524752
	s_mul_i32 s61, s60, s61                                    // 00000000DE18: 923D3D3C
	s_add_u32 s82, s82, s61                                    // 00000000DE1C: 80523D52
	v_mul_lo_u32 v6, v5, s82                                   // 00000000DE20: D2850006 0000A505
	v_readlane_b32 s82, v3, 3                                  // 00000000DE28: D2890052 00010703
	s_lshr_b32 s61, s82, 24                                    // 00000000DE30: 8F3D9852
	s_and_b32 s82, s82, 0xffffff                               // 00000000DE34: 8652FF52 00FFFFFF
	s_mul_i32 s82, s82, s71                                    // 00000000DE3C: 92524752
	s_mul_i32 s61, s60, s61                                    // 00000000DE40: 923D3D3C
	s_add_u32 s82, s82, s61                                    // 00000000DE44: 80523D52
	v_mul_lo_u32 v7, v4, s82                                   // 00000000DE48: D2850007 0000A504
	v_add_u32_e32 v43, v6, v7                                  // 00000000DE50: 68560F06
	v_readlane_b32 s82, v3, 4                                  // 00000000DE54: D2890052 00010903
	s_lshr_b32 s61, s82, 24                                    // 00000000DE5C: 8F3D9852
	s_and_b32 s82, s82, 0xffffff                               // 00000000DE60: 8652FF52 00FFFFFF
	s_mul_i32 s82, s82, s71                                    // 00000000DE68: 92524752
	s_mul_i32 s61, s60, s61                                    // 00000000DE6C: 923D3D3C
	s_add_u32 s82, s82, s61                                    // 00000000DE70: 80523D52
	v_mul_lo_u32 v6, v5, s82                                   // 00000000DE74: D2850006 0000A505
	v_readlane_b32 s82, v3, 5                                  // 00000000DE7C: D2890052 00010B03
	s_lshr_b32 s61, s82, 24                                    // 00000000DE84: 8F3D9852
	s_and_b32 s82, s82, 0xffffff                               // 00000000DE88: 8652FF52 00FFFFFF
	s_mul_i32 s82, s82, s71                                    // 00000000DE90: 92524752
	s_mul_i32 s61, s60, s61                                    // 00000000DE94: 923D3D3C
	s_add_u32 s82, s82, s61                                    // 00000000DE98: 80523D52
	v_mul_lo_u32 v7, v4, s82                                   // 00000000DE9C: D2850007 0000A504
	v_add_u32_e32 v44, v6, v7                                  // 00000000DEA4: 68580F06
	v_readlane_b32 s82, v3, 6                                  // 00000000DEA8: D2890052 00010D03
	s_lshr_b32 s61, s82, 24                                    // 00000000DEB0: 8F3D9852
	s_and_b32 s82, s82, 0xffffff                               // 00000000DEB4: 8652FF52 00FFFFFF
	s_mul_i32 s82, s82, s71                                    // 00000000DEBC: 92524752
	s_mul_i32 s61, s60, s61                                    // 00000000DEC0: 923D3D3C
	s_add_u32 s82, s82, s61                                    // 00000000DEC4: 80523D52
	v_mul_lo_u32 v6, v5, s82                                   // 00000000DEC8: D2850006 0000A505
	v_readlane_b32 s82, v3, 7                                  // 00000000DED0: D2890052 00010F03
	s_lshr_b32 s61, s82, 24                                    // 00000000DED8: 8F3D9852
	s_and_b32 s82, s82, 0xffffff                               // 00000000DEDC: 8652FF52 00FFFFFF
	s_mul_i32 s82, s82, s71                                    // 00000000DEE4: 92524752
	s_mul_i32 s61, s60, s61                                    // 00000000DEE8: 923D3D3C
	s_add_u32 s82, s82, s61                                    // 00000000DEEC: 80523D52
	v_mul_lo_u32 v7, v4, s82                                   // 00000000DEF0: D2850007 0000A504
	v_add_u32_e32 v45, v6, v7                                  // 00000000DEF8: 685A0F06
	v_readlane_b32 s82, v3, 8                                  // 00000000DEFC: D2890052 00011103
	s_lshr_b32 s61, s82, 24                                    // 00000000DF04: 8F3D9852
	s_and_b32 s82, s82, 0xffffff                               // 00000000DF08: 8652FF52 00FFFFFF
	s_mul_i32 s82, s82, s71                                    // 00000000DF10: 92524752
	s_mul_i32 s61, s60, s61                                    // 00000000DF14: 923D3D3C
	s_add_u32 s82, s82, s61                                    // 00000000DF18: 80523D52
	v_mul_lo_u32 v6, v5, s82                                   // 00000000DF1C: D2850006 0000A505
	v_readlane_b32 s82, v3, 9                                  // 00000000DF24: D2890052 00011303
	s_lshr_b32 s61, s82, 24                                    // 00000000DF2C: 8F3D9852
	s_and_b32 s82, s82, 0xffffff                               // 00000000DF30: 8652FF52 00FFFFFF
	s_mul_i32 s82, s82, s71                                    // 00000000DF38: 92524752
	s_mul_i32 s61, s60, s61                                    // 00000000DF3C: 923D3D3C
	s_add_u32 s82, s82, s61                                    // 00000000DF40: 80523D52
	v_mul_lo_u32 v7, v4, s82                                   // 00000000DF44: D2850007 0000A504
	v_add_u32_e32 v46, v6, v7                                  // 00000000DF4C: 685C0F06
	v_readlane_b32 s82, v3, 10                                 // 00000000DF50: D2890052 00011503
	s_lshr_b32 s61, s82, 24                                    // 00000000DF58: 8F3D9852
	s_and_b32 s82, s82, 0xffffff                               // 00000000DF5C: 8652FF52 00FFFFFF
	s_mul_i32 s82, s82, s71                                    // 00000000DF64: 92524752
	s_mul_i32 s61, s60, s61                                    // 00000000DF68: 923D3D3C
	s_add_u32 s82, s82, s61                                    // 00000000DF6C: 80523D52
	v_mul_lo_u32 v6, v5, s82                                   // 00000000DF70: D2850006 0000A505
	v_readlane_b32 s82, v3, 11                                 // 00000000DF78: D2890052 00011703
	s_lshr_b32 s61, s82, 24                                    // 00000000DF80: 8F3D9852
	s_and_b32 s82, s82, 0xffffff                               // 00000000DF84: 8652FF52 00FFFFFF
	s_mul_i32 s82, s82, s71                                    // 00000000DF8C: 92524752
	s_mul_i32 s61, s60, s61                                    // 00000000DF90: 923D3D3C
	s_add_u32 s82, s82, s61                                    // 00000000DF94: 80523D52
	v_mul_lo_u32 v7, v4, s82                                   // 00000000DF98: D2850007 0000A504
	v_add_u32_e32 v47, v6, v7                                  // 00000000DFA0: 685E0F06
	v_and_b32_e32 v4, 31, v0                                   // 00000000DFA4: 2608009F
	v_lshrrev_b32_e32 v4, 1, v4                                // 00000000DFA8: 20080881
	s_cmp_eq_u32 s88, 0                                        // 00000000DFAC: BF068058
	s_cselect_b32 s61, 2, 4                                    // 00000000DFB0: 853D8482
	v_mul_lo_u32 v4, v4, s61                                   // 00000000DFB4: D2850004 00007B04
	v_and_b32_e64 v5, v0, 1                                    // 00000000DFBC: D1130005 00010300
	v_add_u32_e32 v4, v4, v5                                   // 00000000DFC4: 68080B04
	v_lshlrev_b32_e32 v4, 2, v4                                // 00000000DFC8: 24080882
	v_add_u32_e32 v42, v42, v4                                 // 00000000DFCC: 6854092A
	v_add_u32_e32 v43, v43, v4                                 // 00000000DFD0: 6856092B
	v_add_u32_e32 v44, v44, v4                                 // 00000000DFD4: 6858092C
	v_add_u32_e32 v45, v45, v4                                 // 00000000DFD8: 685A092D
	v_add_u32_e32 v46, v46, v4                                 // 00000000DFDC: 685C092E
	v_add_u32_e32 v47, v47, v4                                 // 00000000DFE0: 685E092F
	s_waitcnt lgkmcnt(0)                                       // 00000000DFE4: BF8CC07F
	s_barrier                                                  // 00000000DFE8: BF8A0000
	ds_read_b32 v52, v21                                       // 00000000DFEC: D86C0000 34000015
	ds_read_b32 v53, v21 offset:64                             // 00000000DFF4: D86C0040 35000015
	ds_read_b32 v56, v21 offset:2176                           // 00000000DFFC: D86C0880 38000015
	ds_read_b32 v57, v21 offset:2240                           // 00000000E004: D86C08C0 39000015
	ds_read_b32 v60, v21 offset:4352                           // 00000000E00C: D86C1100 3C000015
	ds_read_b32 v61, v21 offset:4416                           // 00000000E014: D86C1140 3D000015
	ds_read_b32 v64, v21 offset:6528                           // 00000000E01C: D86C1980 40000015
	ds_read_b32 v65, v21 offset:6592                           // 00000000E024: D86C19C0 41000015
	ds_read_b32 v68, v21 offset:8704                           // 00000000E02C: D86C2200 44000015
	ds_read_b32 v69, v21 offset:8768                           // 00000000E034: D86C2240 45000015
	ds_read_b32 v72, v21 offset:10880                          // 00000000E03C: D86C2A80 48000015
	ds_read_b32 v73, v21 offset:10944                          // 00000000E044: D86C2AC0 49000015
	ds_read_b32 v76, v21 offset:13056                          // 00000000E04C: D86C3300 4C000015
	ds_read_b32 v77, v21 offset:13120                          // 00000000E054: D86C3340 4D000015
	ds_read_b32 v80, v21 offset:15232                          // 00000000E05C: D86C3B80 50000015
	ds_read_b32 v81, v21 offset:15296                          // 00000000E064: D86C3BC0 51000015
	ds_read_b32 v84, v21 offset:17408                          // 00000000E06C: D86C4400 54000015
	ds_read_b32 v85, v21 offset:17472                          // 00000000E074: D86C4440 55000015
	ds_read_b32 v88, v21 offset:19584                          // 00000000E07C: D86C4C80 58000015
	ds_read_b32 v89, v21 offset:19648                          // 00000000E084: D86C4CC0 59000015
	ds_read_b32 v92, v21 offset:21760                          // 00000000E08C: D86C5500 5C000015
	ds_read_b32 v93, v21 offset:21824                          // 00000000E094: D86C5540 5D000015
	ds_read_b32 v96, v21 offset:23936                          // 00000000E09C: D86C5D80 60000015
	ds_read_b32 v97, v21 offset:24000                          // 00000000E0A4: D86C5DC0 61000015
	s_waitcnt lgkmcnt(0)                                       // 00000000E0AC: BF8CC07F
	s_mov_b32 s36, -1                                          // 00000000E0B0: BEA400C1
	s_mov_b32 s37, -1                                          // 00000000E0B4: BEA500C1
	v_mov_b32_e32 v7, 0                                        // 00000000E0B8: 7E0E0280
	s_mov_b64 exec, s[36:37]                                   // 00000000E0BC: BEFE0124
	v_mov_b32_e32 v6, v42                                      // 00000000E0C0: 7E0C032A
	s_mov_b64 s[60:61], 0                                      // 00000000E0C4: BEBC0180
	v_readlane_b32 s82, v3, 0                                  // 00000000E0C8: D2890052 00010103
	s_and_b32 s82, s82, 0xffffff                               // 00000000E0D0: 8652FF52 00FFFFFF
	s_cmp_lt_u32 s82, s66                                      // 00000000E0D8: BF0A4252
	s_cselect_b32 s20, s36, s60                                // 00000000E0DC: 85143C24
	v_readlane_b32 s82, v3, 1                                  // 00000000E0E0: D2890052 00010303
	s_and_b32 s82, s82, 0xffffff                               // 00000000E0E8: 8652FF52 00FFFFFF
	s_cmp_lt_u32 s82, s66                                      // 00000000E0F0: BF0A4252
	s_cselect_b32 s21, s36, s60                                // 00000000E0F4: 85153C24
	s_mov_b64 exec, s[20:21]                                   // 00000000E0F8: BEFE0114
	global_atomic_add_f32 v6, v52, s[8:9]                      // 00000000E0FC: DD348000 00083406
	global_atomic_add_f32 v6, v56, s[8:9] offset:256           // 00000000E104: DD348100 00083806
	global_atomic_add_f32 v6, v60, s[8:9] offset:512           // 00000000E10C: DD348200 00083C06
	global_atomic_add_f32 v6, v64, s[8:9] offset:768           // 00000000E114: DD348300 00084006
	s_mov_b64 exec, s[36:37]                                   // 00000000E11C: BEFE0124
	v_mov_b32_e32 v6, v43                                      // 00000000E120: 7E0C032B
	s_mov_b64 s[60:61], 0                                      // 00000000E124: BEBC0180
	v_readlane_b32 s82, v3, 2                                  // 00000000E128: D2890052 00010503
	s_and_b32 s82, s82, 0xffffff                               // 00000000E130: 8652FF52 00FFFFFF
	s_cmp_lt_u32 s82, s66                                      // 00000000E138: BF0A4252
	s_cselect_b32 s20, s36, s60                                // 00000000E13C: 85143C24
	v_readlane_b32 s82, v3, 3                                  // 00000000E140: D2890052 00010703
	s_and_b32 s82, s82, 0xffffff                               // 00000000E148: 8652FF52 00FFFFFF
	s_cmp_lt_u32 s82, s66                                      // 00000000E150: BF0A4252
	s_cselect_b32 s21, s36, s60                                // 00000000E154: 85153C24
	s_mov_b64 exec, s[20:21]                                   // 00000000E158: BEFE0114
	global_atomic_add_f32 v6, v53, s[8:9]                      // 00000000E15C: DD348000 00083506
	global_atomic_add_f32 v6, v57, s[8:9] offset:256           // 00000000E164: DD348100 00083906
	global_atomic_add_f32 v6, v61, s[8:9] offset:512           // 00000000E16C: DD348200 00083D06
	global_atomic_add_f32 v6, v65, s[8:9] offset:768           // 00000000E174: DD348300 00084106
	s_mov_b64 exec, s[36:37]                                   // 00000000E17C: BEFE0124
	v_mov_b32_e32 v6, v44                                      // 00000000E180: 7E0C032C
	s_mov_b64 s[60:61], 0                                      // 00000000E184: BEBC0180
	v_readlane_b32 s82, v3, 4                                  // 00000000E188: D2890052 00010903
	s_and_b32 s82, s82, 0xffffff                               // 00000000E190: 8652FF52 00FFFFFF
	s_cmp_lt_u32 s82, s66                                      // 00000000E198: BF0A4252
	s_cselect_b32 s20, s36, s60                                // 00000000E19C: 85143C24
	v_readlane_b32 s82, v3, 5                                  // 00000000E1A0: D2890052 00010B03
	s_and_b32 s82, s82, 0xffffff                               // 00000000E1A8: 8652FF52 00FFFFFF
	s_cmp_lt_u32 s82, s66                                      // 00000000E1B0: BF0A4252
	s_cselect_b32 s21, s36, s60                                // 00000000E1B4: 85153C24
	s_mov_b64 exec, s[20:21]                                   // 00000000E1B8: BEFE0114
	global_atomic_add_f32 v6, v68, s[8:9]                      // 00000000E1BC: DD348000 00084406
	global_atomic_add_f32 v6, v72, s[8:9] offset:256           // 00000000E1C4: DD348100 00084806
	global_atomic_add_f32 v6, v76, s[8:9] offset:512           // 00000000E1CC: DD348200 00084C06
	global_atomic_add_f32 v6, v80, s[8:9] offset:768           // 00000000E1D4: DD348300 00085006
	s_mov_b64 exec, s[36:37]                                   // 00000000E1DC: BEFE0124
	v_mov_b32_e32 v6, v45                                      // 00000000E1E0: 7E0C032D
	s_mov_b64 s[60:61], 0                                      // 00000000E1E4: BEBC0180
	v_readlane_b32 s82, v3, 6                                  // 00000000E1E8: D2890052 00010D03
	s_and_b32 s82, s82, 0xffffff                               // 00000000E1F0: 8652FF52 00FFFFFF
	s_cmp_lt_u32 s82, s66                                      // 00000000E1F8: BF0A4252
	s_cselect_b32 s20, s36, s60                                // 00000000E1FC: 85143C24
	v_readlane_b32 s82, v3, 7                                  // 00000000E200: D2890052 00010F03
	s_and_b32 s82, s82, 0xffffff                               // 00000000E208: 8652FF52 00FFFFFF
	s_cmp_lt_u32 s82, s66                                      // 00000000E210: BF0A4252
	s_cselect_b32 s21, s36, s60                                // 00000000E214: 85153C24
	s_mov_b64 exec, s[20:21]                                   // 00000000E218: BEFE0114
	global_atomic_add_f32 v6, v69, s[8:9]                      // 00000000E21C: DD348000 00084506
	global_atomic_add_f32 v6, v73, s[8:9] offset:256           // 00000000E224: DD348100 00084906
	global_atomic_add_f32 v6, v77, s[8:9] offset:512           // 00000000E22C: DD348200 00084D06
	global_atomic_add_f32 v6, v81, s[8:9] offset:768           // 00000000E234: DD348300 00085106
	s_mov_b64 exec, s[36:37]                                   // 00000000E23C: BEFE0124
	v_mov_b32_e32 v6, v46                                      // 00000000E240: 7E0C032E
	s_mov_b64 s[60:61], 0                                      // 00000000E244: BEBC0180
	v_readlane_b32 s82, v3, 8                                  // 00000000E248: D2890052 00011103
	s_and_b32 s82, s82, 0xffffff                               // 00000000E250: 8652FF52 00FFFFFF
	s_cmp_lt_u32 s82, s66                                      // 00000000E258: BF0A4252
	s_cselect_b32 s20, s36, s60                                // 00000000E25C: 85143C24
	v_readlane_b32 s82, v3, 9                                  // 00000000E260: D2890052 00011303
	s_and_b32 s82, s82, 0xffffff                               // 00000000E268: 8652FF52 00FFFFFF
	s_cmp_lt_u32 s82, s66                                      // 00000000E270: BF0A4252
	s_cselect_b32 s21, s36, s60                                // 00000000E274: 85153C24
	s_mov_b64 exec, s[20:21]                                   // 00000000E278: BEFE0114
	global_atomic_add_f32 v6, v84, s[8:9]                      // 00000000E27C: DD348000 00085406
	global_atomic_add_f32 v6, v88, s[8:9] offset:256           // 00000000E284: DD348100 00085806
	global_atomic_add_f32 v6, v92, s[8:9] offset:512           // 00000000E28C: DD348200 00085C06
	global_atomic_add_f32 v6, v96, s[8:9] offset:768           // 00000000E294: DD348300 00086006
	s_mov_b64 exec, s[36:37]                                   // 00000000E29C: BEFE0124
	v_mov_b32_e32 v6, v47                                      // 00000000E2A0: 7E0C032F
	s_mov_b64 s[60:61], 0                                      // 00000000E2A4: BEBC0180
	v_readlane_b32 s82, v3, 10                                 // 00000000E2A8: D2890052 00011503
	s_and_b32 s82, s82, 0xffffff                               // 00000000E2B0: 8652FF52 00FFFFFF
	s_cmp_lt_u32 s82, s66                                      // 00000000E2B8: BF0A4252
	s_cselect_b32 s20, s36, s60                                // 00000000E2BC: 85143C24
	v_readlane_b32 s82, v3, 11                                 // 00000000E2C0: D2890052 00011703
	s_and_b32 s82, s82, 0xffffff                               // 00000000E2C8: 8652FF52 00FFFFFF
	s_cmp_lt_u32 s82, s66                                      // 00000000E2D0: BF0A4252
	s_cselect_b32 s21, s36, s60                                // 00000000E2D4: 85153C24
	s_mov_b64 exec, s[20:21]                                   // 00000000E2D8: BEFE0114
	global_atomic_add_f32 v6, v85, s[8:9]                      // 00000000E2DC: DD348000 00085506
	global_atomic_add_f32 v6, v89, s[8:9] offset:256           // 00000000E2E4: DD348100 00085906
	global_atomic_add_f32 v6, v93, s[8:9] offset:512           // 00000000E2EC: DD348200 00085D06
	global_atomic_add_f32 v6, v97, s[8:9] offset:768           // 00000000E2F4: DD348300 00086106
	s_mov_b64 exec, s[36:37]                                   // 00000000E2FC: BEFE0124
	ds_write_b64 v20, v[54:55]                                 // 00000000E300: D89A0000 00003614
	ds_write_b64 v20, v[58:59] offset:8704                     // 00000000E308: D89A2200 00003A14
	ds_write_b64 v20, v[62:63] offset:17408                    // 00000000E310: D89A4400 00003E14
	ds_write_b64 v20, v[66:67] offset:2176                     // 00000000E318: D89A0880 00004214
	ds_write_b64 v20, v[70:71] offset:10880                    // 00000000E320: D89A2A80 00004614
	ds_write_b64 v20, v[74:75] offset:19584                    // 00000000E328: D89A4C80 00004A14
	ds_write_b64 v20, v[78:79] offset:4352                     // 00000000E330: D89A1100 00004E14
	ds_write_b64 v20, v[82:83] offset:13056                    // 00000000E338: D89A3300 00005214
	ds_write_b64 v20, v[86:87] offset:21760                    // 00000000E340: D89A5500 00005614
	ds_write_b64 v20, v[90:91] offset:6528                     // 00000000E348: D89A1980 00005A14
	ds_write_b64 v20, v[94:95] offset:15232                    // 00000000E350: D89A3B80 00005E14
	ds_write_b64 v20, v[98:99] offset:23936                    // 00000000E358: D89A5D80 00006214
	s_waitcnt lgkmcnt(0)                                       // 00000000E360: BF8CC07F
	s_barrier                                                  // 00000000E364: BF8A0000
	ds_read_b32 v54, v21                                       // 00000000E368: D86C0000 36000015
	ds_read_b32 v55, v21 offset:64                             // 00000000E370: D86C0040 37000015
	ds_read_b32 v58, v21 offset:2176                           // 00000000E378: D86C0880 3A000015
	ds_read_b32 v59, v21 offset:2240                           // 00000000E380: D86C08C0 3B000015
	ds_read_b32 v62, v21 offset:4352                           // 00000000E388: D86C1100 3E000015
	ds_read_b32 v63, v21 offset:4416                           // 00000000E390: D86C1140 3F000015
	ds_read_b32 v66, v21 offset:6528                           // 00000000E398: D86C1980 42000015
	ds_read_b32 v67, v21 offset:6592                           // 00000000E3A0: D86C19C0 43000015
	ds_read_b32 v70, v21 offset:8704                           // 00000000E3A8: D86C2200 46000015
	ds_read_b32 v71, v21 offset:8768                           // 00000000E3B0: D86C2240 47000015
	ds_read_b32 v74, v21 offset:10880                          // 00000000E3B8: D86C2A80 4A000015
	ds_read_b32 v75, v21 offset:10944                          // 00000000E3C0: D86C2AC0 4B000015
	ds_read_b32 v78, v21 offset:13056                          // 00000000E3C8: D86C3300 4E000015
	ds_read_b32 v79, v21 offset:13120                          // 00000000E3D0: D86C3340 4F000015
	ds_read_b32 v82, v21 offset:15232                          // 00000000E3D8: D86C3B80 52000015
	ds_read_b32 v83, v21 offset:15296                          // 00000000E3E0: D86C3BC0 53000015
	ds_read_b32 v86, v21 offset:17408                          // 00000000E3E8: D86C4400 56000015
	ds_read_b32 v87, v21 offset:17472                          // 00000000E3F0: D86C4440 57000015
	ds_read_b32 v90, v21 offset:19584                          // 00000000E3F8: D86C4C80 5A000015
	ds_read_b32 v91, v21 offset:19648                          // 00000000E400: D86C4CC0 5B000015
	ds_read_b32 v94, v21 offset:21760                          // 00000000E408: D86C5500 5E000015
	ds_read_b32 v95, v21 offset:21824                          // 00000000E410: D86C5540 5F000015
	ds_read_b32 v98, v21 offset:23936                          // 00000000E418: D86C5D80 62000015
	ds_read_b32 v99, v21 offset:24000                          // 00000000E420: D86C5DC0 63000015
	s_waitcnt lgkmcnt(0)                                       // 00000000E428: BF8CC07F
	v_mov_b32_e32 v7, 0                                        // 00000000E42C: 7E0E0280
	s_mov_b64 exec, s[36:37]                                   // 00000000E430: BEFE0124
	v_mov_b32_e32 v6, v42                                      // 00000000E434: 7E0C032A
	s_mov_b64 s[60:61], 0                                      // 00000000E438: BEBC0180
	v_readlane_b32 s82, v3, 0                                  // 00000000E43C: D2890052 00010103
	s_and_b32 s82, s82, 0xffffff                               // 00000000E444: 8652FF52 00FFFFFF
	s_cmp_lt_u32 s82, s66                                      // 00000000E44C: BF0A4252
	s_cselect_b32 s20, s36, s60                                // 00000000E450: 85143C24
	v_readlane_b32 s82, v3, 1                                  // 00000000E454: D2890052 00010303
	s_and_b32 s82, s82, 0xffffff                               // 00000000E45C: 8652FF52 00FFFFFF
	s_cmp_lt_u32 s82, s66                                      // 00000000E464: BF0A4252
	s_cselect_b32 s21, s36, s60                                // 00000000E468: 85153C24
	s_mov_b64 exec, s[20:21]                                   // 00000000E46C: BEFE0114
	global_atomic_add_f32 v6, v54, s[8:9] offset:8             // 00000000E470: DD348008 00083606
	global_atomic_add_f32 v6, v58, s[8:9] offset:264           // 00000000E478: DD348108 00083A06
	global_atomic_add_f32 v6, v62, s[8:9] offset:520           // 00000000E480: DD348208 00083E06
	global_atomic_add_f32 v6, v66, s[8:9] offset:776           // 00000000E488: DD348308 00084206
	s_mov_b64 exec, s[36:37]                                   // 00000000E490: BEFE0124
	v_mov_b32_e32 v6, v43                                      // 00000000E494: 7E0C032B
	s_mov_b64 s[60:61], 0                                      // 00000000E498: BEBC0180
	v_readlane_b32 s82, v3, 2                                  // 00000000E49C: D2890052 00010503
	s_and_b32 s82, s82, 0xffffff                               // 00000000E4A4: 8652FF52 00FFFFFF
	s_cmp_lt_u32 s82, s66                                      // 00000000E4AC: BF0A4252
	s_cselect_b32 s20, s36, s60                                // 00000000E4B0: 85143C24
	v_readlane_b32 s82, v3, 3                                  // 00000000E4B4: D2890052 00010703
	s_and_b32 s82, s82, 0xffffff                               // 00000000E4BC: 8652FF52 00FFFFFF
	s_cmp_lt_u32 s82, s66                                      // 00000000E4C4: BF0A4252
	s_cselect_b32 s21, s36, s60                                // 00000000E4C8: 85153C24
	s_mov_b64 exec, s[20:21]                                   // 00000000E4CC: BEFE0114
	global_atomic_add_f32 v6, v55, s[8:9] offset:8             // 00000000E4D0: DD348008 00083706
	global_atomic_add_f32 v6, v59, s[8:9] offset:264           // 00000000E4D8: DD348108 00083B06
	global_atomic_add_f32 v6, v63, s[8:9] offset:520           // 00000000E4E0: DD348208 00083F06
	global_atomic_add_f32 v6, v67, s[8:9] offset:776           // 00000000E4E8: DD348308 00084306
	s_mov_b64 exec, s[36:37]                                   // 00000000E4F0: BEFE0124
	v_mov_b32_e32 v6, v44                                      // 00000000E4F4: 7E0C032C
	s_mov_b64 s[60:61], 0                                      // 00000000E4F8: BEBC0180
	v_readlane_b32 s82, v3, 4                                  // 00000000E4FC: D2890052 00010903
	s_and_b32 s82, s82, 0xffffff                               // 00000000E504: 8652FF52 00FFFFFF
	s_cmp_lt_u32 s82, s66                                      // 00000000E50C: BF0A4252
	s_cselect_b32 s20, s36, s60                                // 00000000E510: 85143C24
	v_readlane_b32 s82, v3, 5                                  // 00000000E514: D2890052 00010B03
	s_and_b32 s82, s82, 0xffffff                               // 00000000E51C: 8652FF52 00FFFFFF
	s_cmp_lt_u32 s82, s66                                      // 00000000E524: BF0A4252
	s_cselect_b32 s21, s36, s60                                // 00000000E528: 85153C24
	s_mov_b64 exec, s[20:21]                                   // 00000000E52C: BEFE0114
	global_atomic_add_f32 v6, v70, s[8:9] offset:8             // 00000000E530: DD348008 00084606
	global_atomic_add_f32 v6, v74, s[8:9] offset:264           // 00000000E538: DD348108 00084A06
	global_atomic_add_f32 v6, v78, s[8:9] offset:520           // 00000000E540: DD348208 00084E06
	global_atomic_add_f32 v6, v82, s[8:9] offset:776           // 00000000E548: DD348308 00085206
	s_mov_b64 exec, s[36:37]                                   // 00000000E550: BEFE0124
	v_mov_b32_e32 v6, v45                                      // 00000000E554: 7E0C032D
	s_mov_b64 s[60:61], 0                                      // 00000000E558: BEBC0180
	v_readlane_b32 s82, v3, 6                                  // 00000000E55C: D2890052 00010D03
	s_and_b32 s82, s82, 0xffffff                               // 00000000E564: 8652FF52 00FFFFFF
	s_cmp_lt_u32 s82, s66                                      // 00000000E56C: BF0A4252
	s_cselect_b32 s20, s36, s60                                // 00000000E570: 85143C24
	v_readlane_b32 s82, v3, 7                                  // 00000000E574: D2890052 00010F03
	s_and_b32 s82, s82, 0xffffff                               // 00000000E57C: 8652FF52 00FFFFFF
	s_cmp_lt_u32 s82, s66                                      // 00000000E584: BF0A4252
	s_cselect_b32 s21, s36, s60                                // 00000000E588: 85153C24
	s_mov_b64 exec, s[20:21]                                   // 00000000E58C: BEFE0114
	global_atomic_add_f32 v6, v71, s[8:9] offset:8             // 00000000E590: DD348008 00084706
	global_atomic_add_f32 v6, v75, s[8:9] offset:264           // 00000000E598: DD348108 00084B06
	global_atomic_add_f32 v6, v79, s[8:9] offset:520           // 00000000E5A0: DD348208 00084F06
	global_atomic_add_f32 v6, v83, s[8:9] offset:776           // 00000000E5A8: DD348308 00085306
	s_mov_b64 exec, s[36:37]                                   // 00000000E5B0: BEFE0124
	v_mov_b32_e32 v6, v46                                      // 00000000E5B4: 7E0C032E
	s_mov_b64 s[60:61], 0                                      // 00000000E5B8: BEBC0180
	v_readlane_b32 s82, v3, 8                                  // 00000000E5BC: D2890052 00011103
	s_and_b32 s82, s82, 0xffffff                               // 00000000E5C4: 8652FF52 00FFFFFF
	s_cmp_lt_u32 s82, s66                                      // 00000000E5CC: BF0A4252
	s_cselect_b32 s20, s36, s60                                // 00000000E5D0: 85143C24
	v_readlane_b32 s82, v3, 9                                  // 00000000E5D4: D2890052 00011303
	s_and_b32 s82, s82, 0xffffff                               // 00000000E5DC: 8652FF52 00FFFFFF
	s_cmp_lt_u32 s82, s66                                      // 00000000E5E4: BF0A4252
	s_cselect_b32 s21, s36, s60                                // 00000000E5E8: 85153C24
	s_mov_b64 exec, s[20:21]                                   // 00000000E5EC: BEFE0114
	global_atomic_add_f32 v6, v86, s[8:9] offset:8             // 00000000E5F0: DD348008 00085606
	global_atomic_add_f32 v6, v90, s[8:9] offset:264           // 00000000E5F8: DD348108 00085A06
	global_atomic_add_f32 v6, v94, s[8:9] offset:520           // 00000000E600: DD348208 00085E06
	global_atomic_add_f32 v6, v98, s[8:9] offset:776           // 00000000E608: DD348308 00086206
	s_mov_b64 exec, s[36:37]                                   // 00000000E610: BEFE0124
	v_mov_b32_e32 v6, v47                                      // 00000000E614: 7E0C032F
	s_mov_b64 s[60:61], 0                                      // 00000000E618: BEBC0180
	v_readlane_b32 s82, v3, 10                                 // 00000000E61C: D2890052 00011503
	s_and_b32 s82, s82, 0xffffff                               // 00000000E624: 8652FF52 00FFFFFF
	s_cmp_lt_u32 s82, s66                                      // 00000000E62C: BF0A4252
	s_cselect_b32 s20, s36, s60                                // 00000000E630: 85143C24
	v_readlane_b32 s82, v3, 11                                 // 00000000E634: D2890052 00011703
	s_and_b32 s82, s82, 0xffffff                               // 00000000E63C: 8652FF52 00FFFFFF
	s_cmp_lt_u32 s82, s66                                      // 00000000E644: BF0A4252
	s_cselect_b32 s21, s36, s60                                // 00000000E648: 85153C24
	s_mov_b64 exec, s[20:21]                                   // 00000000E64C: BEFE0114
	global_atomic_add_f32 v6, v87, s[8:9] offset:8             // 00000000E650: DD348008 00085706
	global_atomic_add_f32 v6, v91, s[8:9] offset:264           // 00000000E658: DD348108 00085B06
	global_atomic_add_f32 v6, v95, s[8:9] offset:520           // 00000000E660: DD348208 00085F06
	global_atomic_add_f32 v6, v99, s[8:9] offset:776           // 00000000E668: DD348308 00086306
	s_mov_b64 exec, s[36:37]                                   // 00000000E670: BEFE0124
	ds_write_b64 v20, v[100:101]                               // 00000000E674: D89A0000 00006414
	ds_write_b64 v20, v[104:105] offset:8704                   // 00000000E67C: D89A2200 00006814
	ds_write_b64 v20, v[108:109] offset:17408                  // 00000000E684: D89A4400 00006C14
	ds_write_b64 v20, v[112:113] offset:2176                   // 00000000E68C: D89A0880 00007014
	ds_write_b64 v20, v[116:117] offset:10880                  // 00000000E694: D89A2A80 00007414
	ds_write_b64 v20, v[120:121] offset:19584                  // 00000000E69C: D89A4C80 00007814
	ds_write_b64 v20, v[124:125] offset:4352                   // 00000000E6A4: D89A1100 00007C14
	ds_write_b64 v20, v[128:129] offset:13056                  // 00000000E6AC: D89A3300 00008014
	ds_write_b64 v20, v[132:133] offset:21760                  // 00000000E6B4: D89A5500 00008414
	ds_write_b64 v20, v[136:137] offset:6528                   // 00000000E6BC: D89A1980 00008814
	ds_write_b64 v20, v[140:141] offset:15232                  // 00000000E6C4: D89A3B80 00008C14
	ds_write_b64 v20, v[144:145] offset:23936                  // 00000000E6CC: D89A5D80 00009014
	s_waitcnt lgkmcnt(0)                                       // 00000000E6D4: BF8CC07F
	s_barrier                                                  // 00000000E6D8: BF8A0000
	ds_read_b32 v100, v21                                      // 00000000E6DC: D86C0000 64000015
	ds_read_b32 v101, v21 offset:64                            // 00000000E6E4: D86C0040 65000015
	ds_read_b32 v104, v21 offset:2176                          // 00000000E6EC: D86C0880 68000015
	ds_read_b32 v105, v21 offset:2240                          // 00000000E6F4: D86C08C0 69000015
	ds_read_b32 v108, v21 offset:4352                          // 00000000E6FC: D86C1100 6C000015
	ds_read_b32 v109, v21 offset:4416                          // 00000000E704: D86C1140 6D000015
	ds_read_b32 v112, v21 offset:6528                          // 00000000E70C: D86C1980 70000015
	ds_read_b32 v113, v21 offset:6592                          // 00000000E714: D86C19C0 71000015
	ds_read_b32 v116, v21 offset:8704                          // 00000000E71C: D86C2200 74000015
	ds_read_b32 v117, v21 offset:8768                          // 00000000E724: D86C2240 75000015
	ds_read_b32 v120, v21 offset:10880                         // 00000000E72C: D86C2A80 78000015
	ds_read_b32 v121, v21 offset:10944                         // 00000000E734: D86C2AC0 79000015
	ds_read_b32 v124, v21 offset:13056                         // 00000000E73C: D86C3300 7C000015
	ds_read_b32 v125, v21 offset:13120                         // 00000000E744: D86C3340 7D000015
	ds_read_b32 v128, v21 offset:15232                         // 00000000E74C: D86C3B80 80000015
	ds_read_b32 v129, v21 offset:15296                         // 00000000E754: D86C3BC0 81000015
	ds_read_b32 v132, v21 offset:17408                         // 00000000E75C: D86C4400 84000015
	ds_read_b32 v133, v21 offset:17472                         // 00000000E764: D86C4440 85000015
	ds_read_b32 v136, v21 offset:19584                         // 00000000E76C: D86C4C80 88000015
	ds_read_b32 v137, v21 offset:19648                         // 00000000E774: D86C4CC0 89000015
	ds_read_b32 v140, v21 offset:21760                         // 00000000E77C: D86C5500 8C000015
	ds_read_b32 v141, v21 offset:21824                         // 00000000E784: D86C5540 8D000015
	ds_read_b32 v144, v21 offset:23936                         // 00000000E78C: D86C5D80 90000015
	ds_read_b32 v145, v21 offset:24000                         // 00000000E794: D86C5DC0 91000015
	s_mul_i32 s60, s65, 4                                      // 00000000E79C: 923C8441
	s_add_u32 s8, s60, s8                                      // 00000000E7A0: 8008083C
	s_addc_u32 s9, 0, s9                                       // 00000000E7A4: 82090980
	s_waitcnt lgkmcnt(0)                                       // 00000000E7A8: BF8CC07F
	v_mov_b32_e32 v7, 0                                        // 00000000E7AC: 7E0E0280
	s_mov_b64 exec, s[36:37]                                   // 00000000E7B0: BEFE0124
	v_mov_b32_e32 v6, v42                                      // 00000000E7B4: 7E0C032A
	s_mov_b64 s[60:61], 0                                      // 00000000E7B8: BEBC0180
	v_readlane_b32 s82, v3, 0                                  // 00000000E7BC: D2890052 00010103
	s_and_b32 s82, s82, 0xffffff                               // 00000000E7C4: 8652FF52 00FFFFFF
	s_cmp_lt_u32 s82, s66                                      // 00000000E7CC: BF0A4252
	s_cselect_b32 s20, s36, s60                                // 00000000E7D0: 85143C24
	v_readlane_b32 s82, v3, 1                                  // 00000000E7D4: D2890052 00010303
	s_and_b32 s82, s82, 0xffffff                               // 00000000E7DC: 8652FF52 00FFFFFF
	s_cmp_lt_u32 s82, s66                                      // 00000000E7E4: BF0A4252
	s_cselect_b32 s21, s36, s60                                // 00000000E7E8: 85153C24
	s_mov_b64 exec, s[20:21]                                   // 00000000E7EC: BEFE0114
	global_atomic_add_f32 v6, v100, s[8:9]                     // 00000000E7F0: DD348000 00086406
	global_atomic_add_f32 v6, v104, s[8:9] offset:256          // 00000000E7F8: DD348100 00086806
	global_atomic_add_f32 v6, v108, s[8:9] offset:512          // 00000000E800: DD348200 00086C06
	global_atomic_add_f32 v6, v112, s[8:9] offset:768          // 00000000E808: DD348300 00087006
	s_mov_b64 exec, s[36:37]                                   // 00000000E810: BEFE0124
	v_mov_b32_e32 v6, v43                                      // 00000000E814: 7E0C032B
	s_mov_b64 s[60:61], 0                                      // 00000000E818: BEBC0180
	v_readlane_b32 s82, v3, 2                                  // 00000000E81C: D2890052 00010503
	s_and_b32 s82, s82, 0xffffff                               // 00000000E824: 8652FF52 00FFFFFF
	s_cmp_lt_u32 s82, s66                                      // 00000000E82C: BF0A4252
	s_cselect_b32 s20, s36, s60                                // 00000000E830: 85143C24
	v_readlane_b32 s82, v3, 3                                  // 00000000E834: D2890052 00010703
	s_and_b32 s82, s82, 0xffffff                               // 00000000E83C: 8652FF52 00FFFFFF
	s_cmp_lt_u32 s82, s66                                      // 00000000E844: BF0A4252
	s_cselect_b32 s21, s36, s60                                // 00000000E848: 85153C24
	s_mov_b64 exec, s[20:21]                                   // 00000000E84C: BEFE0114
	global_atomic_add_f32 v6, v101, s[8:9]                     // 00000000E850: DD348000 00086506
	global_atomic_add_f32 v6, v105, s[8:9] offset:256          // 00000000E858: DD348100 00086906
	global_atomic_add_f32 v6, v109, s[8:9] offset:512          // 00000000E860: DD348200 00086D06
	global_atomic_add_f32 v6, v113, s[8:9] offset:768          // 00000000E868: DD348300 00087106
	s_mov_b64 exec, s[36:37]                                   // 00000000E870: BEFE0124
	v_mov_b32_e32 v6, v44                                      // 00000000E874: 7E0C032C
	s_mov_b64 s[60:61], 0                                      // 00000000E878: BEBC0180
	v_readlane_b32 s82, v3, 4                                  // 00000000E87C: D2890052 00010903
	s_and_b32 s82, s82, 0xffffff                               // 00000000E884: 8652FF52 00FFFFFF
	s_cmp_lt_u32 s82, s66                                      // 00000000E88C: BF0A4252
	s_cselect_b32 s20, s36, s60                                // 00000000E890: 85143C24
	v_readlane_b32 s82, v3, 5                                  // 00000000E894: D2890052 00010B03
	s_and_b32 s82, s82, 0xffffff                               // 00000000E89C: 8652FF52 00FFFFFF
	s_cmp_lt_u32 s82, s66                                      // 00000000E8A4: BF0A4252
	s_cselect_b32 s21, s36, s60                                // 00000000E8A8: 85153C24
	s_mov_b64 exec, s[20:21]                                   // 00000000E8AC: BEFE0114
	global_atomic_add_f32 v6, v116, s[8:9]                     // 00000000E8B0: DD348000 00087406
	global_atomic_add_f32 v6, v120, s[8:9] offset:256          // 00000000E8B8: DD348100 00087806
	global_atomic_add_f32 v6, v124, s[8:9] offset:512          // 00000000E8C0: DD348200 00087C06
	global_atomic_add_f32 v6, v128, s[8:9] offset:768          // 00000000E8C8: DD348300 00088006
	s_mov_b64 exec, s[36:37]                                   // 00000000E8D0: BEFE0124
	v_mov_b32_e32 v6, v45                                      // 00000000E8D4: 7E0C032D
	s_mov_b64 s[60:61], 0                                      // 00000000E8D8: BEBC0180
	v_readlane_b32 s82, v3, 6                                  // 00000000E8DC: D2890052 00010D03
	s_and_b32 s82, s82, 0xffffff                               // 00000000E8E4: 8652FF52 00FFFFFF
	s_cmp_lt_u32 s82, s66                                      // 00000000E8EC: BF0A4252
	s_cselect_b32 s20, s36, s60                                // 00000000E8F0: 85143C24
	v_readlane_b32 s82, v3, 7                                  // 00000000E8F4: D2890052 00010F03
	s_and_b32 s82, s82, 0xffffff                               // 00000000E8FC: 8652FF52 00FFFFFF
	s_cmp_lt_u32 s82, s66                                      // 00000000E904: BF0A4252
	s_cselect_b32 s21, s36, s60                                // 00000000E908: 85153C24
	s_mov_b64 exec, s[20:21]                                   // 00000000E90C: BEFE0114
	global_atomic_add_f32 v6, v117, s[8:9]                     // 00000000E910: DD348000 00087506
	global_atomic_add_f32 v6, v121, s[8:9] offset:256          // 00000000E918: DD348100 00087906
	global_atomic_add_f32 v6, v125, s[8:9] offset:512          // 00000000E920: DD348200 00087D06
	global_atomic_add_f32 v6, v129, s[8:9] offset:768          // 00000000E928: DD348300 00088106
	s_mov_b64 exec, s[36:37]                                   // 00000000E930: BEFE0124
	v_mov_b32_e32 v6, v46                                      // 00000000E934: 7E0C032E
	s_mov_b64 s[60:61], 0                                      // 00000000E938: BEBC0180
	v_readlane_b32 s82, v3, 8                                  // 00000000E93C: D2890052 00011103
	s_and_b32 s82, s82, 0xffffff                               // 00000000E944: 8652FF52 00FFFFFF
	s_cmp_lt_u32 s82, s66                                      // 00000000E94C: BF0A4252
	s_cselect_b32 s20, s36, s60                                // 00000000E950: 85143C24
	v_readlane_b32 s82, v3, 9                                  // 00000000E954: D2890052 00011303
	s_and_b32 s82, s82, 0xffffff                               // 00000000E95C: 8652FF52 00FFFFFF
	s_cmp_lt_u32 s82, s66                                      // 00000000E964: BF0A4252
	s_cselect_b32 s21, s36, s60                                // 00000000E968: 85153C24
	s_mov_b64 exec, s[20:21]                                   // 00000000E96C: BEFE0114
	global_atomic_add_f32 v6, v132, s[8:9]                     // 00000000E970: DD348000 00088406
	global_atomic_add_f32 v6, v136, s[8:9] offset:256          // 00000000E978: DD348100 00088806
	global_atomic_add_f32 v6, v140, s[8:9] offset:512          // 00000000E980: DD348200 00088C06
	global_atomic_add_f32 v6, v144, s[8:9] offset:768          // 00000000E988: DD348300 00089006
	s_mov_b64 exec, s[36:37]                                   // 00000000E990: BEFE0124
	v_mov_b32_e32 v6, v47                                      // 00000000E994: 7E0C032F
	s_mov_b64 s[60:61], 0                                      // 00000000E998: BEBC0180
	v_readlane_b32 s82, v3, 10                                 // 00000000E99C: D2890052 00011503
	s_and_b32 s82, s82, 0xffffff                               // 00000000E9A4: 8652FF52 00FFFFFF
	s_cmp_lt_u32 s82, s66                                      // 00000000E9AC: BF0A4252
	s_cselect_b32 s20, s36, s60                                // 00000000E9B0: 85143C24
	v_readlane_b32 s82, v3, 11                                 // 00000000E9B4: D2890052 00011703
	s_and_b32 s82, s82, 0xffffff                               // 00000000E9BC: 8652FF52 00FFFFFF
	s_cmp_lt_u32 s82, s66                                      // 00000000E9C4: BF0A4252
	s_cselect_b32 s21, s36, s60                                // 00000000E9C8: 85153C24
	s_mov_b64 exec, s[20:21]                                   // 00000000E9CC: BEFE0114
	global_atomic_add_f32 v6, v133, s[8:9]                     // 00000000E9D0: DD348000 00088506
	global_atomic_add_f32 v6, v137, s[8:9] offset:256          // 00000000E9D8: DD348100 00088906
	global_atomic_add_f32 v6, v141, s[8:9] offset:512          // 00000000E9E0: DD348200 00088D06
	global_atomic_add_f32 v6, v145, s[8:9] offset:768          // 00000000E9E8: DD348300 00089106
	s_mov_b64 exec, s[36:37]                                   // 00000000E9F0: BEFE0124
	ds_write_b64 v20, v[102:103]                               // 00000000E9F4: D89A0000 00006614
	ds_write_b64 v20, v[106:107] offset:8704                   // 00000000E9FC: D89A2200 00006A14
	ds_write_b64 v20, v[110:111] offset:17408                  // 00000000EA04: D89A4400 00006E14
	ds_write_b64 v20, v[114:115] offset:2176                   // 00000000EA0C: D89A0880 00007214
	ds_write_b64 v20, v[118:119] offset:10880                  // 00000000EA14: D89A2A80 00007614
	ds_write_b64 v20, v[122:123] offset:19584                  // 00000000EA1C: D89A4C80 00007A14
	ds_write_b64 v20, v[126:127] offset:4352                   // 00000000EA24: D89A1100 00007E14
	ds_write_b64 v20, v[130:131] offset:13056                  // 00000000EA2C: D89A3300 00008214
	ds_write_b64 v20, v[134:135] offset:21760                  // 00000000EA34: D89A5500 00008614
	ds_write_b64 v20, v[138:139] offset:6528                   // 00000000EA3C: D89A1980 00008A14
	ds_write_b64 v20, v[142:143] offset:15232                  // 00000000EA44: D89A3B80 00008E14
	ds_write_b64 v20, v[146:147] offset:23936                  // 00000000EA4C: D89A5D80 00009214
	s_waitcnt lgkmcnt(0)                                       // 00000000EA54: BF8CC07F
	s_barrier                                                  // 00000000EA58: BF8A0000
	ds_read_b32 v102, v21                                      // 00000000EA5C: D86C0000 66000015
	ds_read_b32 v103, v21 offset:64                            // 00000000EA64: D86C0040 67000015
	ds_read_b32 v106, v21 offset:2176                          // 00000000EA6C: D86C0880 6A000015
	ds_read_b32 v107, v21 offset:2240                          // 00000000EA74: D86C08C0 6B000015
	ds_read_b32 v110, v21 offset:4352                          // 00000000EA7C: D86C1100 6E000015
	ds_read_b32 v111, v21 offset:4416                          // 00000000EA84: D86C1140 6F000015
	ds_read_b32 v114, v21 offset:6528                          // 00000000EA8C: D86C1980 72000015
	ds_read_b32 v115, v21 offset:6592                          // 00000000EA94: D86C19C0 73000015
	ds_read_b32 v118, v21 offset:8704                          // 00000000EA9C: D86C2200 76000015
	ds_read_b32 v119, v21 offset:8768                          // 00000000EAA4: D86C2240 77000015
	ds_read_b32 v122, v21 offset:10880                         // 00000000EAAC: D86C2A80 7A000015
	ds_read_b32 v123, v21 offset:10944                         // 00000000EAB4: D86C2AC0 7B000015
	ds_read_b32 v126, v21 offset:13056                         // 00000000EABC: D86C3300 7E000015
	ds_read_b32 v127, v21 offset:13120                         // 00000000EAC4: D86C3340 7F000015
	ds_read_b32 v130, v21 offset:15232                         // 00000000EACC: D86C3B80 82000015
	ds_read_b32 v131, v21 offset:15296                         // 00000000EAD4: D86C3BC0 83000015
	ds_read_b32 v134, v21 offset:17408                         // 00000000EADC: D86C4400 86000015
	ds_read_b32 v135, v21 offset:17472                         // 00000000EAE4: D86C4440 87000015
	ds_read_b32 v138, v21 offset:19584                         // 00000000EAEC: D86C4C80 8A000015
	ds_read_b32 v139, v21 offset:19648                         // 00000000EAF4: D86C4CC0 8B000015
	ds_read_b32 v142, v21 offset:21760                         // 00000000EAFC: D86C5500 8E000015
	ds_read_b32 v143, v21 offset:21824                         // 00000000EB04: D86C5540 8F000015
	ds_read_b32 v146, v21 offset:23936                         // 00000000EB0C: D86C5D80 92000015
	ds_read_b32 v147, v21 offset:24000                         // 00000000EB14: D86C5DC0 93000015
	s_waitcnt lgkmcnt(0)                                       // 00000000EB1C: BF8CC07F
	v_mov_b32_e32 v7, 0                                        // 00000000EB20: 7E0E0280
	s_mov_b64 exec, s[36:37]                                   // 00000000EB24: BEFE0124
	v_mov_b32_e32 v6, v42                                      // 00000000EB28: 7E0C032A
	s_mov_b64 s[60:61], 0                                      // 00000000EB2C: BEBC0180
	v_readlane_b32 s82, v3, 0                                  // 00000000EB30: D2890052 00010103
	s_and_b32 s82, s82, 0xffffff                               // 00000000EB38: 8652FF52 00FFFFFF
	s_cmp_lt_u32 s82, s66                                      // 00000000EB40: BF0A4252
	s_cselect_b32 s20, s36, s60                                // 00000000EB44: 85143C24
	v_readlane_b32 s82, v3, 1                                  // 00000000EB48: D2890052 00010303
	s_and_b32 s82, s82, 0xffffff                               // 00000000EB50: 8652FF52 00FFFFFF
	s_cmp_lt_u32 s82, s66                                      // 00000000EB58: BF0A4252
	s_cselect_b32 s21, s36, s60                                // 00000000EB5C: 85153C24
	s_mov_b64 exec, s[20:21]                                   // 00000000EB60: BEFE0114
	global_atomic_add_f32 v6, v102, s[8:9] offset:8            // 00000000EB64: DD348008 00086606
	global_atomic_add_f32 v6, v106, s[8:9] offset:264          // 00000000EB6C: DD348108 00086A06
	global_atomic_add_f32 v6, v110, s[8:9] offset:520          // 00000000EB74: DD348208 00086E06
	global_atomic_add_f32 v6, v114, s[8:9] offset:776          // 00000000EB7C: DD348308 00087206
	s_mov_b64 exec, s[36:37]                                   // 00000000EB84: BEFE0124
	v_mov_b32_e32 v6, v43                                      // 00000000EB88: 7E0C032B
	s_mov_b64 s[60:61], 0                                      // 00000000EB8C: BEBC0180
	v_readlane_b32 s82, v3, 2                                  // 00000000EB90: D2890052 00010503
	s_and_b32 s82, s82, 0xffffff                               // 00000000EB98: 8652FF52 00FFFFFF
	s_cmp_lt_u32 s82, s66                                      // 00000000EBA0: BF0A4252
	s_cselect_b32 s20, s36, s60                                // 00000000EBA4: 85143C24
	v_readlane_b32 s82, v3, 3                                  // 00000000EBA8: D2890052 00010703
	s_and_b32 s82, s82, 0xffffff                               // 00000000EBB0: 8652FF52 00FFFFFF
	s_cmp_lt_u32 s82, s66                                      // 00000000EBB8: BF0A4252
	s_cselect_b32 s21, s36, s60                                // 00000000EBBC: 85153C24
	s_mov_b64 exec, s[20:21]                                   // 00000000EBC0: BEFE0114
	global_atomic_add_f32 v6, v103, s[8:9] offset:8            // 00000000EBC4: DD348008 00086706
	global_atomic_add_f32 v6, v107, s[8:9] offset:264          // 00000000EBCC: DD348108 00086B06
	global_atomic_add_f32 v6, v111, s[8:9] offset:520          // 00000000EBD4: DD348208 00086F06
	global_atomic_add_f32 v6, v115, s[8:9] offset:776          // 00000000EBDC: DD348308 00087306
	s_mov_b64 exec, s[36:37]                                   // 00000000EBE4: BEFE0124
	v_mov_b32_e32 v6, v44                                      // 00000000EBE8: 7E0C032C
	s_mov_b64 s[60:61], 0                                      // 00000000EBEC: BEBC0180
	v_readlane_b32 s82, v3, 4                                  // 00000000EBF0: D2890052 00010903
	s_and_b32 s82, s82, 0xffffff                               // 00000000EBF8: 8652FF52 00FFFFFF
	s_cmp_lt_u32 s82, s66                                      // 00000000EC00: BF0A4252
	s_cselect_b32 s20, s36, s60                                // 00000000EC04: 85143C24
	v_readlane_b32 s82, v3, 5                                  // 00000000EC08: D2890052 00010B03
	s_and_b32 s82, s82, 0xffffff                               // 00000000EC10: 8652FF52 00FFFFFF
	s_cmp_lt_u32 s82, s66                                      // 00000000EC18: BF0A4252
	s_cselect_b32 s21, s36, s60                                // 00000000EC1C: 85153C24
	s_mov_b64 exec, s[20:21]                                   // 00000000EC20: BEFE0114
	global_atomic_add_f32 v6, v118, s[8:9] offset:8            // 00000000EC24: DD348008 00087606
	global_atomic_add_f32 v6, v122, s[8:9] offset:264          // 00000000EC2C: DD348108 00087A06
	global_atomic_add_f32 v6, v126, s[8:9] offset:520          // 00000000EC34: DD348208 00087E06
	global_atomic_add_f32 v6, v130, s[8:9] offset:776          // 00000000EC3C: DD348308 00088206
	s_mov_b64 exec, s[36:37]                                   // 00000000EC44: BEFE0124
	v_mov_b32_e32 v6, v45                                      // 00000000EC48: 7E0C032D
	s_mov_b64 s[60:61], 0                                      // 00000000EC4C: BEBC0180
	v_readlane_b32 s82, v3, 6                                  // 00000000EC50: D2890052 00010D03
	s_and_b32 s82, s82, 0xffffff                               // 00000000EC58: 8652FF52 00FFFFFF
	s_cmp_lt_u32 s82, s66                                      // 00000000EC60: BF0A4252
	s_cselect_b32 s20, s36, s60                                // 00000000EC64: 85143C24
	v_readlane_b32 s82, v3, 7                                  // 00000000EC68: D2890052 00010F03
	s_and_b32 s82, s82, 0xffffff                               // 00000000EC70: 8652FF52 00FFFFFF
	s_cmp_lt_u32 s82, s66                                      // 00000000EC78: BF0A4252
	s_cselect_b32 s21, s36, s60                                // 00000000EC7C: 85153C24
	s_mov_b64 exec, s[20:21]                                   // 00000000EC80: BEFE0114
	global_atomic_add_f32 v6, v119, s[8:9] offset:8            // 00000000EC84: DD348008 00087706
	global_atomic_add_f32 v6, v123, s[8:9] offset:264          // 00000000EC8C: DD348108 00087B06
	global_atomic_add_f32 v6, v127, s[8:9] offset:520          // 00000000EC94: DD348208 00087F06
	global_atomic_add_f32 v6, v131, s[8:9] offset:776          // 00000000EC9C: DD348308 00088306
	s_mov_b64 exec, s[36:37]                                   // 00000000ECA4: BEFE0124
	v_mov_b32_e32 v6, v46                                      // 00000000ECA8: 7E0C032E
	s_mov_b64 s[60:61], 0                                      // 00000000ECAC: BEBC0180
	v_readlane_b32 s82, v3, 8                                  // 00000000ECB0: D2890052 00011103
	s_and_b32 s82, s82, 0xffffff                               // 00000000ECB8: 8652FF52 00FFFFFF
	s_cmp_lt_u32 s82, s66                                      // 00000000ECC0: BF0A4252
	s_cselect_b32 s20, s36, s60                                // 00000000ECC4: 85143C24
	v_readlane_b32 s82, v3, 9                                  // 00000000ECC8: D2890052 00011303
	s_and_b32 s82, s82, 0xffffff                               // 00000000ECD0: 8652FF52 00FFFFFF
	s_cmp_lt_u32 s82, s66                                      // 00000000ECD8: BF0A4252
	s_cselect_b32 s21, s36, s60                                // 00000000ECDC: 85153C24
	s_mov_b64 exec, s[20:21]                                   // 00000000ECE0: BEFE0114
	global_atomic_add_f32 v6, v134, s[8:9] offset:8            // 00000000ECE4: DD348008 00088606
	global_atomic_add_f32 v6, v138, s[8:9] offset:264          // 00000000ECEC: DD348108 00088A06
	global_atomic_add_f32 v6, v142, s[8:9] offset:520          // 00000000ECF4: DD348208 00088E06
	global_atomic_add_f32 v6, v146, s[8:9] offset:776          // 00000000ECFC: DD348308 00089206
	s_mov_b64 exec, s[36:37]                                   // 00000000ED04: BEFE0124
	v_mov_b32_e32 v6, v47                                      // 00000000ED08: 7E0C032F
	s_mov_b64 s[60:61], 0                                      // 00000000ED0C: BEBC0180
	v_readlane_b32 s82, v3, 10                                 // 00000000ED10: D2890052 00011503
	s_and_b32 s82, s82, 0xffffff                               // 00000000ED18: 8652FF52 00FFFFFF
	s_cmp_lt_u32 s82, s66                                      // 00000000ED20: BF0A4252
	s_cselect_b32 s20, s36, s60                                // 00000000ED24: 85143C24
	v_readlane_b32 s82, v3, 11                                 // 00000000ED28: D2890052 00011703
	s_and_b32 s82, s82, 0xffffff                               // 00000000ED30: 8652FF52 00FFFFFF
	s_cmp_lt_u32 s82, s66                                      // 00000000ED38: BF0A4252
	s_cselect_b32 s21, s36, s60                                // 00000000ED3C: 85153C24
	s_mov_b64 exec, s[20:21]                                   // 00000000ED40: BEFE0114
	global_atomic_add_f32 v6, v135, s[8:9] offset:8            // 00000000ED44: DD348008 00088706
	global_atomic_add_f32 v6, v139, s[8:9] offset:264          // 00000000ED4C: DD348108 00088B06
	global_atomic_add_f32 v6, v143, s[8:9] offset:520          // 00000000ED54: DD348208 00088F06
	global_atomic_add_f32 v6, v147, s[8:9] offset:776          // 00000000ED5C: DD348308 00089306
	s_mov_b64 exec, s[36:37]                                   // 00000000ED64: BEFE0124
	s_branch label_30DE                                        // 00000000ED68: BF820000

000000000000ed6c <label_30DE>:
	s_waitcnt vmcnt(0) expcnt(0) lgkmcnt(0)                    // 00000000ED6C: BF8C0000
	s_endpgm                                                   // 00000000ED70: BF810000
